;; amdgpu-corpus repo=ROCm/rocFFT kind=compiled arch=gfx906 opt=O3
	.text
	.amdgcn_target "amdgcn-amd-amdhsa--gfx906"
	.amdhsa_code_object_version 6
	.protected	fft_rtc_fwd_len306_factors_17_2_9_wgs_238_tpt_34_halfLds_dp_ip_CI_sbrr_dirReg ; -- Begin function fft_rtc_fwd_len306_factors_17_2_9_wgs_238_tpt_34_halfLds_dp_ip_CI_sbrr_dirReg
	.globl	fft_rtc_fwd_len306_factors_17_2_9_wgs_238_tpt_34_halfLds_dp_ip_CI_sbrr_dirReg
	.p2align	8
	.type	fft_rtc_fwd_len306_factors_17_2_9_wgs_238_tpt_34_halfLds_dp_ip_CI_sbrr_dirReg,@function
fft_rtc_fwd_len306_factors_17_2_9_wgs_238_tpt_34_halfLds_dp_ip_CI_sbrr_dirReg: ; @fft_rtc_fwd_len306_factors_17_2_9_wgs_238_tpt_34_halfLds_dp_ip_CI_sbrr_dirReg
; %bb.0:
	s_load_dwordx2 s[2:3], s[4:5], 0x18
	s_load_dwordx4 s[8:11], s[4:5], 0x0
	s_load_dwordx2 s[14:15], s[4:5], 0x50
	v_mul_u32_u24_e32 v1, 0x788, v0
	v_lshrrev_b32_e32 v1, 16, v1
	v_mad_u64_u32 v[72:73], s[0:1], s6, 7, v[1:2]
	s_waitcnt lgkmcnt(0)
	s_load_dwordx2 s[12:13], s[2:3], 0x0
	v_mov_b32_e32 v3, 0
	v_cmp_lt_u64_e64 s[0:1], s[10:11], 2
	v_mov_b32_e32 v73, v3
	v_mov_b32_e32 v1, 0
	;; [unrolled: 1-line block ×3, first 2 shown]
	s_and_b64 vcc, exec, s[0:1]
	v_mov_b32_e32 v2, 0
	v_mov_b32_e32 v8, v73
	s_cbranch_vccnz .LBB0_8
; %bb.1:
	s_load_dwordx2 s[0:1], s[4:5], 0x10
	s_add_u32 s6, s2, 8
	s_addc_u32 s7, s3, 0
	v_mov_b32_e32 v1, 0
	v_mov_b32_e32 v5, v72
	s_waitcnt lgkmcnt(0)
	s_add_u32 s18, s0, 8
	s_mov_b64 s[16:17], 1
	v_mov_b32_e32 v2, 0
	s_addc_u32 s19, s1, 0
	v_mov_b32_e32 v6, v73
.LBB0_2:                                ; =>This Inner Loop Header: Depth=1
	s_load_dwordx2 s[20:21], s[18:19], 0x0
                                        ; implicit-def: $vgpr7_vgpr8
	s_waitcnt lgkmcnt(0)
	v_or_b32_e32 v4, s21, v6
	v_cmp_ne_u64_e32 vcc, 0, v[3:4]
	s_and_saveexec_b64 s[0:1], vcc
	s_xor_b64 s[22:23], exec, s[0:1]
	s_cbranch_execz .LBB0_4
; %bb.3:                                ;   in Loop: Header=BB0_2 Depth=1
	v_cvt_f32_u32_e32 v4, s20
	v_cvt_f32_u32_e32 v7, s21
	s_sub_u32 s0, 0, s20
	s_subb_u32 s1, 0, s21
	v_mac_f32_e32 v4, 0x4f800000, v7
	v_rcp_f32_e32 v4, v4
	v_mul_f32_e32 v4, 0x5f7ffffc, v4
	v_mul_f32_e32 v7, 0x2f800000, v4
	v_trunc_f32_e32 v7, v7
	v_mac_f32_e32 v4, 0xcf800000, v7
	v_cvt_u32_f32_e32 v7, v7
	v_cvt_u32_f32_e32 v4, v4
	v_mul_lo_u32 v8, s0, v7
	v_mul_hi_u32 v9, s0, v4
	v_mul_lo_u32 v11, s1, v4
	v_mul_lo_u32 v10, s0, v4
	v_add_u32_e32 v8, v9, v8
	v_add_u32_e32 v8, v8, v11
	v_mul_hi_u32 v9, v4, v10
	v_mul_lo_u32 v11, v4, v8
	v_mul_hi_u32 v13, v4, v8
	v_mul_hi_u32 v12, v7, v10
	v_mul_lo_u32 v10, v7, v10
	v_mul_hi_u32 v14, v7, v8
	v_add_co_u32_e32 v9, vcc, v9, v11
	v_addc_co_u32_e32 v11, vcc, 0, v13, vcc
	v_mul_lo_u32 v8, v7, v8
	v_add_co_u32_e32 v9, vcc, v9, v10
	v_addc_co_u32_e32 v9, vcc, v11, v12, vcc
	v_addc_co_u32_e32 v10, vcc, 0, v14, vcc
	v_add_co_u32_e32 v8, vcc, v9, v8
	v_addc_co_u32_e32 v9, vcc, 0, v10, vcc
	v_add_co_u32_e32 v4, vcc, v4, v8
	v_addc_co_u32_e32 v7, vcc, v7, v9, vcc
	v_mul_lo_u32 v8, s0, v7
	v_mul_hi_u32 v9, s0, v4
	v_mul_lo_u32 v10, s1, v4
	v_mul_lo_u32 v11, s0, v4
	v_add_u32_e32 v8, v9, v8
	v_add_u32_e32 v8, v8, v10
	v_mul_lo_u32 v12, v4, v8
	v_mul_hi_u32 v13, v4, v11
	v_mul_hi_u32 v14, v4, v8
	;; [unrolled: 1-line block ×3, first 2 shown]
	v_mul_lo_u32 v11, v7, v11
	v_mul_hi_u32 v9, v7, v8
	v_add_co_u32_e32 v12, vcc, v13, v12
	v_addc_co_u32_e32 v13, vcc, 0, v14, vcc
	v_mul_lo_u32 v8, v7, v8
	v_add_co_u32_e32 v11, vcc, v12, v11
	v_addc_co_u32_e32 v10, vcc, v13, v10, vcc
	v_addc_co_u32_e32 v9, vcc, 0, v9, vcc
	v_add_co_u32_e32 v8, vcc, v10, v8
	v_addc_co_u32_e32 v9, vcc, 0, v9, vcc
	v_add_co_u32_e32 v4, vcc, v4, v8
	v_addc_co_u32_e32 v9, vcc, v7, v9, vcc
	v_mad_u64_u32 v[7:8], s[0:1], v5, v9, 0
	v_mul_hi_u32 v10, v5, v4
	v_add_co_u32_e32 v11, vcc, v10, v7
	v_addc_co_u32_e32 v12, vcc, 0, v8, vcc
	v_mad_u64_u32 v[7:8], s[0:1], v6, v4, 0
	v_mad_u64_u32 v[9:10], s[0:1], v6, v9, 0
	v_add_co_u32_e32 v4, vcc, v11, v7
	v_addc_co_u32_e32 v4, vcc, v12, v8, vcc
	v_addc_co_u32_e32 v7, vcc, 0, v10, vcc
	v_add_co_u32_e32 v4, vcc, v4, v9
	v_addc_co_u32_e32 v9, vcc, 0, v7, vcc
	v_mul_lo_u32 v10, s21, v4
	v_mul_lo_u32 v11, s20, v9
	v_mad_u64_u32 v[7:8], s[0:1], s20, v4, 0
	v_add3_u32 v8, v8, v11, v10
	v_sub_u32_e32 v10, v6, v8
	v_mov_b32_e32 v11, s21
	v_sub_co_u32_e32 v7, vcc, v5, v7
	v_subb_co_u32_e64 v10, s[0:1], v10, v11, vcc
	v_subrev_co_u32_e64 v11, s[0:1], s20, v7
	v_subbrev_co_u32_e64 v10, s[0:1], 0, v10, s[0:1]
	v_cmp_le_u32_e64 s[0:1], s21, v10
	v_cndmask_b32_e64 v12, 0, -1, s[0:1]
	v_cmp_le_u32_e64 s[0:1], s20, v11
	v_cndmask_b32_e64 v11, 0, -1, s[0:1]
	v_cmp_eq_u32_e64 s[0:1], s21, v10
	v_cndmask_b32_e64 v10, v12, v11, s[0:1]
	v_add_co_u32_e64 v11, s[0:1], 2, v4
	v_addc_co_u32_e64 v12, s[0:1], 0, v9, s[0:1]
	v_add_co_u32_e64 v13, s[0:1], 1, v4
	v_addc_co_u32_e64 v14, s[0:1], 0, v9, s[0:1]
	v_subb_co_u32_e32 v8, vcc, v6, v8, vcc
	v_cmp_ne_u32_e64 s[0:1], 0, v10
	v_cmp_le_u32_e32 vcc, s21, v8
	v_cndmask_b32_e64 v10, v14, v12, s[0:1]
	v_cndmask_b32_e64 v12, 0, -1, vcc
	v_cmp_le_u32_e32 vcc, s20, v7
	v_cndmask_b32_e64 v7, 0, -1, vcc
	v_cmp_eq_u32_e32 vcc, s21, v8
	v_cndmask_b32_e32 v7, v12, v7, vcc
	v_cmp_ne_u32_e32 vcc, 0, v7
	v_cndmask_b32_e64 v7, v13, v11, s[0:1]
	v_cndmask_b32_e32 v8, v9, v10, vcc
	v_cndmask_b32_e32 v7, v4, v7, vcc
.LBB0_4:                                ;   in Loop: Header=BB0_2 Depth=1
	s_andn2_saveexec_b64 s[0:1], s[22:23]
	s_cbranch_execz .LBB0_6
; %bb.5:                                ;   in Loop: Header=BB0_2 Depth=1
	v_cvt_f32_u32_e32 v4, s20
	s_sub_i32 s22, 0, s20
	v_rcp_iflag_f32_e32 v4, v4
	v_mul_f32_e32 v4, 0x4f7ffffe, v4
	v_cvt_u32_f32_e32 v4, v4
	v_mul_lo_u32 v7, s22, v4
	v_mul_hi_u32 v7, v4, v7
	v_add_u32_e32 v4, v4, v7
	v_mul_hi_u32 v4, v5, v4
	v_mul_lo_u32 v7, v4, s20
	v_add_u32_e32 v8, 1, v4
	v_sub_u32_e32 v7, v5, v7
	v_subrev_u32_e32 v9, s20, v7
	v_cmp_le_u32_e32 vcc, s20, v7
	v_cndmask_b32_e32 v7, v7, v9, vcc
	v_cndmask_b32_e32 v4, v4, v8, vcc
	v_add_u32_e32 v8, 1, v4
	v_cmp_le_u32_e32 vcc, s20, v7
	v_cndmask_b32_e32 v7, v4, v8, vcc
	v_mov_b32_e32 v8, v3
.LBB0_6:                                ;   in Loop: Header=BB0_2 Depth=1
	s_or_b64 exec, exec, s[0:1]
	v_mul_lo_u32 v4, v8, s20
	v_mul_lo_u32 v11, v7, s21
	v_mad_u64_u32 v[9:10], s[0:1], v7, s20, 0
	s_load_dwordx2 s[0:1], s[6:7], 0x0
	s_add_u32 s16, s16, 1
	v_add3_u32 v4, v10, v11, v4
	v_sub_co_u32_e32 v5, vcc, v5, v9
	v_subb_co_u32_e32 v4, vcc, v6, v4, vcc
	s_waitcnt lgkmcnt(0)
	v_mul_lo_u32 v4, s0, v4
	v_mul_lo_u32 v6, s1, v5
	v_mad_u64_u32 v[1:2], s[0:1], s0, v5, v[1:2]
	s_addc_u32 s17, s17, 0
	s_add_u32 s6, s6, 8
	v_add3_u32 v2, v6, v2, v4
	v_mov_b32_e32 v4, s10
	v_mov_b32_e32 v5, s11
	s_addc_u32 s7, s7, 0
	v_cmp_ge_u64_e32 vcc, s[16:17], v[4:5]
	s_add_u32 s18, s18, 8
	s_addc_u32 s19, s19, 0
	s_cbranch_vccnz .LBB0_8
; %bb.7:                                ;   in Loop: Header=BB0_2 Depth=1
	v_mov_b32_e32 v5, v7
	v_mov_b32_e32 v6, v8
	s_branch .LBB0_2
.LBB0_8:
	s_lshl_b64 s[0:1], s[10:11], 3
	s_add_u32 s0, s2, s0
	s_addc_u32 s1, s3, s1
	s_load_dwordx2 s[2:3], s[0:1], 0x0
	s_load_dwordx2 s[6:7], s[4:5], 0x20
	v_mov_b32_e32 v110, 0
                                        ; implicit-def: $vgpr14_vgpr15
                                        ; implicit-def: $vgpr22_vgpr23
                                        ; implicit-def: $vgpr10_vgpr11
                                        ; implicit-def: $vgpr18_vgpr19
                                        ; implicit-def: $vgpr26_vgpr27
                                        ; implicit-def: $vgpr30_vgpr31
                                        ; implicit-def: $vgpr34_vgpr35
                                        ; implicit-def: $vgpr38_vgpr39
                                        ; implicit-def: $vgpr42_vgpr43
                                        ; implicit-def: $vgpr46_vgpr47
                                        ; implicit-def: $vgpr50_vgpr51
                                        ; implicit-def: $vgpr54_vgpr55
                                        ; implicit-def: $vgpr58_vgpr59
                                        ; implicit-def: $vgpr62_vgpr63
                                        ; implicit-def: $vgpr66_vgpr67
                                        ; implicit-def: $vgpr70_vgpr71
	s_waitcnt lgkmcnt(0)
	v_mad_u64_u32 v[88:89], s[0:1], s2, v7, v[1:2]
	s_mov_b32 s0, 0x7878788
	v_mul_hi_u32 v1, v0, s0
	v_mul_lo_u32 v3, s2, v8
	v_mul_lo_u32 v4, s3, v7
	v_cmp_gt_u64_e32 vcc, s[6:7], v[7:8]
	v_mul_u32_u24_e32 v1, 34, v1
	v_sub_u32_e32 v111, v0, v1
	v_add3_u32 v89, v4, v89, v3
                                        ; implicit-def: $vgpr6_vgpr7
	s_and_saveexec_b64 s[2:3], vcc
	s_cbranch_execz .LBB0_12
; %bb.9:
	v_cmp_gt_u32_e64 s[0:1], 18, v111
                                        ; implicit-def: $vgpr4_vgpr5
                                        ; implicit-def: $vgpr68_vgpr69
                                        ; implicit-def: $vgpr64_vgpr65
                                        ; implicit-def: $vgpr60_vgpr61
                                        ; implicit-def: $vgpr56_vgpr57
                                        ; implicit-def: $vgpr52_vgpr53
                                        ; implicit-def: $vgpr48_vgpr49
                                        ; implicit-def: $vgpr44_vgpr45
                                        ; implicit-def: $vgpr40_vgpr41
                                        ; implicit-def: $vgpr36_vgpr37
                                        ; implicit-def: $vgpr32_vgpr33
                                        ; implicit-def: $vgpr28_vgpr29
                                        ; implicit-def: $vgpr24_vgpr25
                                        ; implicit-def: $vgpr16_vgpr17
                                        ; implicit-def: $vgpr8_vgpr9
                                        ; implicit-def: $vgpr20_vgpr21
                                        ; implicit-def: $vgpr12_vgpr13
	s_and_saveexec_b64 s[4:5], s[0:1]
	s_cbranch_execz .LBB0_11
; %bb.10:
	v_mad_u64_u32 v[0:1], s[0:1], s12, v111, 0
	v_add_u32_e32 v7, 18, v111
	v_mad_u64_u32 v[4:5], s[0:1], s12, v7, 0
	v_mad_u64_u32 v[1:2], s[0:1], s13, v111, v[1:2]
	v_lshlrev_b64 v[2:3], 4, v[88:89]
	v_mov_b32_e32 v6, s15
	v_add_co_u32_e64 v16, s[0:1], s14, v2
	v_mov_b32_e32 v2, v5
	v_addc_co_u32_e64 v17, s[0:1], v6, v3, s[0:1]
	v_mad_u64_u32 v[2:3], s[0:1], s13, v7, v[2:3]
	v_add_u32_e32 v8, 36, v111
	v_mad_u64_u32 v[6:7], s[0:1], s12, v8, 0
	v_lshlrev_b64 v[0:1], 4, v[0:1]
	v_mov_b32_e32 v5, v2
	v_add_co_u32_e64 v0, s[0:1], v16, v0
	v_lshlrev_b64 v[2:3], 4, v[4:5]
	v_mov_b32_e32 v4, v7
	v_addc_co_u32_e64 v1, s[0:1], v17, v1, s[0:1]
	v_mad_u64_u32 v[4:5], s[0:1], s13, v8, v[4:5]
	v_add_u32_e32 v10, 54, v111
	v_mad_u64_u32 v[8:9], s[0:1], s12, v10, 0
	v_mov_b32_e32 v7, v4
	v_add_co_u32_e64 v2, s[0:1], v16, v2
	v_lshlrev_b64 v[4:5], 4, v[6:7]
	v_mov_b32_e32 v6, v9
	v_addc_co_u32_e64 v3, s[0:1], v17, v3, s[0:1]
	v_mad_u64_u32 v[6:7], s[0:1], s13, v10, v[6:7]
	v_add_u32_e32 v7, 0x48, v111
	v_mad_u64_u32 v[10:11], s[0:1], s12, v7, 0
	v_add_co_u32_e64 v12, s[0:1], v16, v4
	v_mov_b32_e32 v9, v6
	v_mov_b32_e32 v6, v11
	v_addc_co_u32_e64 v13, s[0:1], v17, v5, s[0:1]
	v_lshlrev_b64 v[4:5], 4, v[8:9]
	v_mad_u64_u32 v[6:7], s[0:1], s13, v7, v[6:7]
	v_add_u32_e32 v9, 0x5a, v111
	v_mad_u64_u32 v[7:8], s[0:1], s12, v9, 0
	v_add_co_u32_e64 v14, s[0:1], v16, v4
	v_mov_b32_e32 v11, v6
	v_mov_b32_e32 v6, v8
	v_addc_co_u32_e64 v15, s[0:1], v17, v5, s[0:1]
	v_lshlrev_b64 v[4:5], 4, v[10:11]
	v_mad_u64_u32 v[8:9], s[0:1], s13, v9, v[6:7]
	v_add_u32_e32 v11, 0x6c, v111
	v_mad_u64_u32 v[9:10], s[0:1], s12, v11, 0
	v_add_co_u32_e64 v20, s[0:1], v16, v4
	v_mov_b32_e32 v6, v10
	v_addc_co_u32_e64 v21, s[0:1], v17, v5, s[0:1]
	v_lshlrev_b64 v[4:5], 4, v[7:8]
	v_mad_u64_u32 v[6:7], s[0:1], s13, v11, v[6:7]
	v_add_u32_e32 v11, 0x7e, v111
	v_mad_u64_u32 v[7:8], s[0:1], s12, v11, 0
	v_add_co_u32_e64 v22, s[0:1], v16, v4
	v_mov_b32_e32 v10, v6
	v_mov_b32_e32 v6, v8
	v_addc_co_u32_e64 v23, s[0:1], v17, v5, s[0:1]
	v_lshlrev_b64 v[4:5], 4, v[9:10]
	v_mad_u64_u32 v[8:9], s[0:1], s13, v11, v[6:7]
	v_add_u32_e32 v11, 0x90, v111
	v_mad_u64_u32 v[9:10], s[0:1], s12, v11, 0
	v_add_co_u32_e64 v73, s[0:1], v16, v4
	;; [unrolled: 15-line block ×5, first 2 shown]
	v_mov_b32_e32 v6, v10
	v_addc_co_u32_e64 v86, s[0:1], v17, v5, s[0:1]
	v_lshlrev_b64 v[4:5], 4, v[7:8]
	v_mad_u64_u32 v[6:7], s[0:1], s13, v11, v[6:7]
	v_add_u32_e32 v11, 0x10e, v111
	v_mad_u64_u32 v[7:8], s[0:1], s12, v11, 0
	v_add_co_u32_e64 v90, s[0:1], v16, v4
	v_mov_b32_e32 v10, v6
	v_mov_b32_e32 v6, v8
	v_addc_co_u32_e64 v91, s[0:1], v17, v5, s[0:1]
	v_lshlrev_b64 v[4:5], 4, v[9:10]
	v_mad_u64_u32 v[8:9], s[0:1], s13, v11, v[6:7]
	v_or_b32_e32 v11, 0x120, v111
	v_mad_u64_u32 v[9:10], s[0:1], s12, v11, 0
	v_add_co_u32_e64 v92, s[0:1], v16, v4
	v_mov_b32_e32 v6, v10
	v_addc_co_u32_e64 v93, s[0:1], v17, v5, s[0:1]
	v_lshlrev_b64 v[4:5], 4, v[7:8]
	v_mad_u64_u32 v[6:7], s[0:1], s13, v11, v[6:7]
	v_add_co_u32_e64 v94, s[0:1], v16, v4
	v_mov_b32_e32 v10, v6
	v_addc_co_u32_e64 v95, s[0:1], v17, v5, s[0:1]
	v_lshlrev_b64 v[4:5], 4, v[9:10]
	v_add_co_u32_e64 v96, s[0:1], v16, v4
	v_addc_co_u32_e64 v97, s[0:1], v17, v5, s[0:1]
	global_load_dwordx4 v[4:7], v[0:1], off
	global_load_dwordx4 v[68:71], v[2:3], off
	;; [unrolled: 1-line block ×15, first 2 shown]
                                        ; kill: killed $vgpr83 killed $vgpr84
                                        ; kill: killed $vgpr14 killed $vgpr15
                                        ; kill: killed $vgpr85 killed $vgpr86
                                        ; kill: killed $vgpr20 killed $vgpr21
                                        ; kill: killed $vgpr90 killed $vgpr91
                                        ; kill: killed $vgpr22 killed $vgpr23
                                        ; kill: killed $vgpr92 killed $vgpr93
                                        ; kill: killed $vgpr73 killed $vgpr74
                                        ; kill: killed $vgpr75 killed $vgpr76
                                        ; kill: killed $vgpr77 killed $vgpr78
                                        ; kill: killed $vgpr0 killed $vgpr1
                                        ; kill: killed $vgpr79 killed $vgpr80
                                        ; kill: killed $vgpr2 killed $vgpr3
                                        ; kill: killed $vgpr81 killed $vgpr82
                                        ; kill: killed $vgpr12 killed $vgpr13
	global_load_dwordx4 v[20:23], v[94:95], off
	global_load_dwordx4 v[12:15], v[96:97], off
.LBB0_11:
	s_or_b64 exec, exec, s[4:5]
	v_mov_b32_e32 v110, v111
.LBB0_12:
	s_or_b64 exec, exec, s[2:3]
	s_waitcnt vmcnt(0)
	v_add_f64 v[73:74], v[12:13], v[68:69]
	s_mov_b32 s2, 0x7faef3
	s_mov_b32 s3, 0xbfef7484
	v_add_f64 v[75:76], v[70:71], -v[14:15]
	v_add_f64 v[77:78], v[20:21], v[64:65]
	s_mov_b32 s52, 0xacd6c6b4
	s_mov_b32 s4, 0x370991
	;; [unrolled: 1-line block ×3, first 2 shown]
	v_mul_f64 v[0:1], v[73:74], s[2:3]
	s_mov_b32 s5, 0x3fedd6d0
	v_add_f64 v[79:80], v[66:67], -v[22:23]
	s_mov_b32 s20, 0x5d8e7cdc
	v_mul_f64 v[2:3], v[77:78], s[4:5]
	s_mov_b32 s7, 0xbfc7851a
	s_mov_b32 s6, s52
	;; [unrolled: 1-line block ×3, first 2 shown]
	v_fma_f64 v[83:84], v[75:76], s[52:53], v[0:1]
	v_fma_f64 v[0:1], v[75:76], s[6:7], v[0:1]
	v_add_f64 v[81:82], v[8:9], v[60:61]
	s_mov_b32 s16, 0x910ea3b9
	v_fma_f64 v[85:86], v[79:80], s[20:21], v[2:3]
	s_mov_b32 s11, 0x3fd71e95
	s_mov_b32 s10, s20
	;; [unrolled: 1-line block ×3, first 2 shown]
	v_add_f64 v[90:91], v[4:5], v[83:84]
	v_fma_f64 v[2:3], v[79:80], s[10:11], v[2:3]
	v_add_f64 v[0:1], v[4:5], v[0:1]
	v_add_f64 v[83:84], v[62:63], -v[10:11]
	v_mul_f64 v[92:93], v[81:82], s[16:17]
	s_mov_b32 s30, 0x4363dd80
	s_mov_b32 s22, 0x75d4884
	;; [unrolled: 1-line block ×3, first 2 shown]
	v_add_f64 v[94:95], v[85:86], v[90:91]
	v_add_f64 v[85:86], v[16:17], v[56:57]
	s_mov_b32 s19, 0xbfe0d888
	s_mov_b32 s18, s30
	;; [unrolled: 1-line block ×3, first 2 shown]
	v_add_f64 v[0:1], v[2:3], v[0:1]
	v_fma_f64 v[2:3], v[83:84], s[30:31], v[92:93]
	v_fma_f64 v[92:93], v[83:84], s[18:19], v[92:93]
	v_add_f64 v[90:91], v[58:59], -v[18:19]
	v_mul_f64 v[96:97], v[85:86], s[22:23]
	s_mov_b32 s34, 0x2a9d6da3
	s_mov_b32 s35, 0xbfe58eea
	;; [unrolled: 1-line block ×4, first 2 shown]
	v_add_f64 v[2:3], v[2:3], v[94:95]
	v_add_f64 v[0:1], v[92:93], v[0:1]
	;; [unrolled: 1-line block ×3, first 2 shown]
	v_fma_f64 v[92:93], v[90:91], s[34:35], v[96:97]
	s_mov_b32 s54, s34
	s_mov_b32 s25, 0xbfe348c8
	v_fma_f64 v[96:97], v[90:91], s[54:55], v[96:97]
	v_add_f64 v[98:99], v[54:55], -v[26:27]
	s_mov_b32 s56, 0x6c9a05f6
	s_mov_b32 s28, 0x2b2883cd
	v_mul_f64 v[100:101], v[94:95], s[24:25]
	v_add_f64 v[2:3], v[92:93], v[2:3]
	v_add_f64 v[92:93], v[28:29], v[48:49]
	s_mov_b32 s57, 0x3fe9895b
	s_mov_b32 s37, 0xbfe9895b
	s_mov_b32 s36, s56
	s_mov_b32 s29, 0x3fdc86fa
	v_add_f64 v[0:1], v[96:97], v[0:1]
	v_fma_f64 v[96:97], v[98:99], s[56:57], v[100:101]
	v_fma_f64 v[100:101], v[98:99], s[36:37], v[100:101]
	v_add_f64 v[104:105], v[50:51], -v[30:31]
	v_mul_f64 v[102:103], v[92:93], s[28:29]
	s_mov_b32 s40, 0x7c9e640b
	s_mov_b32 s41, 0xbfeca52d
	;; [unrolled: 1-line block ×4, first 2 shown]
	v_add_f64 v[2:3], v[96:97], v[2:3]
	v_add_f64 v[0:1], v[100:101], v[0:1]
	;; [unrolled: 1-line block ×3, first 2 shown]
	v_fma_f64 v[100:101], v[104:105], s[40:41], v[102:103]
	s_mov_b32 s42, s40
	s_mov_b32 s39, 0xbfd183b1
	v_fma_f64 v[106:107], v[104:105], s[42:43], v[102:103]
	v_add_f64 v[102:103], v[46:47], -v[34:35]
	s_mov_b32 s44, 0x923c349f
	s_mov_b32 s46, 0x3259b75e
	v_mul_f64 v[108:109], v[96:97], s[38:39]
	v_add_f64 v[2:3], v[100:101], v[2:3]
	v_add_f64 v[100:101], v[36:37], v[40:41]
	s_mov_b32 s45, 0x3feec746
	s_mov_b32 s49, 0xbfeec746
	;; [unrolled: 1-line block ×4, first 2 shown]
	v_add_f64 v[0:1], v[106:107], v[0:1]
	v_fma_f64 v[112:113], v[102:103], s[44:45], v[108:109]
	v_fma_f64 v[108:109], v[102:103], s[48:49], v[108:109]
	v_add_f64 v[106:107], v[42:43], -v[38:39]
	v_mul_f64 v[114:115], v[100:101], s[46:47]
	s_mov_b32 s50, 0xeb564b22
	s_mov_b32 s51, 0xbfefdd0d
	;; [unrolled: 1-line block ×4, first 2 shown]
	v_add_f64 v[2:3], v[112:113], v[2:3]
	v_add_f64 v[108:109], v[108:109], v[0:1]
	s_mov_b32 s0, 0x24924925
	v_fma_f64 v[0:1], v[106:107], s[50:51], v[114:115]
	v_fma_f64 v[112:113], v[106:107], s[58:59], v[114:115]
	v_mul_hi_u32 v87, v72, s0
	v_cmp_gt_u32_e64 s[0:1], 18, v111
	v_add_f64 v[0:1], v[0:1], v[2:3]
	v_add_f64 v[2:3], v[112:113], v[108:109]
	v_sub_u32_e32 v108, v72, v87
	v_lshrrev_b32_e32 v108, 1, v108
	v_add_u32_e32 v87, v108, v87
	v_lshrrev_b32_e32 v87, 2, v87
	v_mul_lo_u32 v87, v87, 7
	v_sub_u32_e32 v72, v72, v87
	v_mul_u32_u24_e32 v72, 0x132, v72
	v_lshlrev_b32_e32 v112, 3, v72
	s_and_saveexec_b64 s[26:27], s[0:1]
	s_cbranch_execz .LBB0_14
; %bb.13:
	v_mul_f64 v[108:109], v[75:76], s[18:19]
	v_mul_f64 v[115:116], v[79:80], s[42:43]
	;; [unrolled: 1-line block ×8, first 2 shown]
	v_fma_f64 v[127:128], v[73:74], s[16:17], v[108:109]
	v_fma_f64 v[108:109], v[73:74], s[16:17], -v[108:109]
	v_fma_f64 v[139:140], v[77:78], s[28:29], v[115:116]
	v_fma_f64 v[115:116], v[77:78], s[28:29], -v[115:116]
	v_fma_f64 v[147:148], v[81:82], s[46:47], v[119:120]
	v_fma_f64 v[145:146], v[73:74], s[24:25], v[113:114]
	v_fma_f64 v[113:114], v[73:74], s[24:25], -v[113:114]
	v_fma_f64 v[119:120], v[81:82], s[46:47], -v[119:120]
	v_add_f64 v[127:128], v[4:5], v[127:128]
	v_add_f64 v[108:109], v[4:5], v[108:109]
	v_mul_f64 v[133:134], v[104:105], s[6:7]
	v_mul_f64 v[125:126], v[90:91], s[18:19]
	;; [unrolled: 1-line block ×4, first 2 shown]
	v_add_f64 v[113:114], v[4:5], v[113:114]
	v_add_f64 v[145:146], v[4:5], v[145:146]
	;; [unrolled: 1-line block ×4, first 2 shown]
	v_fma_f64 v[115:116], v[85:86], s[24:25], v[123:124]
	v_fma_f64 v[139:140], v[77:78], s[38:39], v[117:118]
	v_fma_f64 v[117:118], v[77:78], s[38:39], -v[117:118]
	v_fma_f64 v[123:124], v[85:86], s[24:25], -v[123:124]
	v_mul_f64 v[143:144], v[75:76], s[48:49]
	v_mul_f64 v[137:138], v[104:105], s[34:35]
	v_add_f64 v[127:128], v[147:148], v[127:128]
	v_add_f64 v[108:109], v[119:120], v[108:109]
	v_fma_f64 v[119:120], v[94:95], s[4:5], v[129:130]
	v_fma_f64 v[147:148], v[81:82], s[4:5], v[121:122]
	v_fma_f64 v[121:122], v[81:82], s[4:5], -v[121:122]
	v_add_f64 v[113:114], v[117:118], v[113:114]
	v_add_f64 v[139:140], v[139:140], v[145:146]
	v_fma_f64 v[117:118], v[85:86], s[16:17], v[125:126]
	v_add_f64 v[115:116], v[115:116], v[127:128]
	v_fma_f64 v[127:128], v[94:95], s[4:5], -v[129:130]
	v_add_f64 v[108:109], v[123:124], v[108:109]
	v_fma_f64 v[123:124], v[92:93], s[2:3], v[133:134]
	v_fma_f64 v[125:126], v[85:86], s[16:17], -v[125:126]
	v_add_f64 v[113:114], v[121:122], v[113:114]
	v_fma_f64 v[121:122], v[94:95], s[46:47], -v[131:132]
	v_add_f64 v[129:130], v[147:148], v[139:140]
	v_add_f64 v[115:116], v[119:120], v[115:116]
	v_fma_f64 v[119:120], v[94:95], s[46:47], v[131:132]
	v_fma_f64 v[131:132], v[92:93], s[2:3], -v[133:134]
	v_add_f64 v[108:109], v[127:128], v[108:109]
	v_fma_f64 v[127:128], v[96:97], s[22:23], v[135:136]
	v_add_f64 v[113:114], v[125:126], v[113:114]
	v_fma_f64 v[125:126], v[96:97], s[22:23], -v[135:136]
	v_mul_f64 v[141:142], v[106:107], s[48:49]
	v_add_f64 v[115:116], v[123:124], v[115:116]
	v_mul_f64 v[123:124], v[79:80], s[30:31]
	v_add_f64 v[117:118], v[117:118], v[129:130]
	v_add_f64 v[108:109], v[131:132], v[108:109]
	v_fma_f64 v[131:132], v[73:74], s[38:39], v[143:144]
	v_add_f64 v[113:114], v[121:122], v[113:114]
	v_fma_f64 v[121:122], v[92:93], s[22:23], -v[137:138]
	v_mul_f64 v[133:134], v[83:84], s[54:55]
	v_add_f64 v[115:116], v[127:128], v[115:116]
	v_fma_f64 v[127:128], v[73:74], s[38:39], -v[143:144]
	v_fma_f64 v[129:130], v[92:93], s[22:23], v[137:138]
	v_add_f64 v[125:126], v[125:126], v[108:109]
	v_fma_f64 v[108:109], v[77:78], s[16:17], v[123:124]
	v_add_f64 v[131:132], v[4:5], v[131:132]
	v_fma_f64 v[123:124], v[77:78], s[16:17], -v[123:124]
	v_add_f64 v[117:118], v[119:120], v[117:118]
	v_mul_f64 v[119:120], v[102:103], s[6:7]
	v_add_f64 v[127:128], v[4:5], v[127:128]
	v_fma_f64 v[135:136], v[100:101], s[38:39], v[141:142]
	v_add_f64 v[113:114], v[121:122], v[113:114]
	v_mul_f64 v[137:138], v[90:91], s[40:41]
	v_add_f64 v[121:122], v[108:109], v[131:132]
	v_fma_f64 v[131:132], v[81:82], s[22:23], v[133:134]
	v_add_f64 v[117:118], v[129:130], v[117:118]
	v_fma_f64 v[129:130], v[96:97], s[2:3], v[119:120]
	v_add_f64 v[123:124], v[123:124], v[127:128]
	v_fma_f64 v[127:128], v[81:82], s[22:23], -v[133:134]
	v_mul_f64 v[139:140], v[106:107], s[42:43]
	v_add_f64 v[108:109], v[135:136], v[115:116]
	v_fma_f64 v[119:120], v[96:97], s[2:3], -v[119:120]
	v_add_f64 v[115:116], v[131:132], v[121:122]
	v_fma_f64 v[121:122], v[85:86], s[28:29], v[137:138]
	v_mul_f64 v[131:132], v[98:99], s[6:7]
	v_add_f64 v[117:118], v[129:130], v[117:118]
	v_add_f64 v[123:124], v[127:128], v[123:124]
	v_fma_f64 v[127:128], v[85:86], s[28:29], -v[137:138]
	v_mul_f64 v[129:130], v[75:76], s[50:51]
	v_fma_f64 v[135:136], v[100:101], s[28:29], v[139:140]
	v_fma_f64 v[137:138], v[100:101], s[28:29], -v[139:140]
	v_add_f64 v[115:116], v[121:122], v[115:116]
	v_fma_f64 v[121:122], v[94:95], s[2:3], v[131:132]
	v_mul_f64 v[139:140], v[104:105], s[58:59]
	v_fma_f64 v[133:134], v[100:101], s[38:39], -v[141:142]
	v_add_f64 v[123:124], v[127:128], v[123:124]
	v_fma_f64 v[127:128], v[94:95], s[2:3], -v[131:132]
	v_fma_f64 v[141:142], v[73:74], s[46:47], v[129:130]
	v_mul_f64 v[143:144], v[79:80], s[6:7]
	v_fma_f64 v[129:130], v[73:74], s[46:47], -v[129:130]
	v_add_f64 v[115:116], v[121:122], v[115:116]
	v_fma_f64 v[121:122], v[92:93], s[46:47], v[139:140]
	v_fma_f64 v[139:140], v[92:93], s[46:47], -v[139:140]
	v_add_f64 v[113:114], v[119:120], v[113:114]
	v_add_f64 v[123:124], v[127:128], v[123:124]
	;; [unrolled: 1-line block ×4, first 2 shown]
	v_fma_f64 v[131:132], v[77:78], s[2:3], v[143:144]
	v_mul_f64 v[133:134], v[83:84], s[44:45]
	v_fma_f64 v[143:144], v[77:78], s[2:3], -v[143:144]
	v_add_f64 v[129:130], v[4:5], v[129:130]
	v_mul_f64 v[127:128], v[102:103], s[20:21]
	v_add_f64 v[123:124], v[139:140], v[123:124]
	v_mul_f64 v[139:140], v[75:76], s[40:41]
	v_add_f64 v[115:116], v[121:122], v[115:116]
	v_add_f64 v[121:122], v[131:132], v[125:126]
	v_fma_f64 v[125:126], v[81:82], s[38:39], v[133:134]
	v_mul_f64 v[131:132], v[90:91], s[10:11]
	v_mul_f64 v[147:148], v[79:80], s[36:37]
	v_add_f64 v[129:130], v[143:144], v[129:130]
	v_fma_f64 v[133:134], v[81:82], s[38:39], -v[133:134]
	v_fma_f64 v[145:146], v[73:74], s[28:29], v[139:140]
	v_add_f64 v[117:118], v[135:136], v[117:118]
	v_add_f64 v[113:114], v[137:138], v[113:114]
	v_fma_f64 v[135:136], v[96:97], s[4:5], v[127:128]
	v_mul_f64 v[137:138], v[106:107], s[36:37]
	v_fma_f64 v[127:128], v[96:97], s[4:5], -v[127:128]
	v_add_f64 v[121:122], v[125:126], v[121:122]
	v_fma_f64 v[125:126], v[85:86], s[4:5], v[131:132]
	v_mul_f64 v[141:142], v[98:99], s[40:41]
	v_add_f64 v[143:144], v[4:5], v[145:146]
	v_fma_f64 v[145:146], v[77:78], s[24:25], v[147:148]
	v_mul_f64 v[151:152], v[83:84], s[52:53]
	v_add_f64 v[129:130], v[133:134], v[129:130]
	v_fma_f64 v[131:132], v[85:86], s[4:5], -v[131:132]
	v_add_f64 v[115:116], v[135:136], v[115:116]
	v_fma_f64 v[135:136], v[100:101], s[24:25], v[137:138]
	v_add_f64 v[121:122], v[125:126], v[121:122]
	v_fma_f64 v[125:126], v[94:95], s[28:29], v[141:142]
	v_mul_f64 v[149:150], v[104:105], s[18:19]
	v_add_f64 v[123:124], v[127:128], v[123:124]
	v_add_f64 v[127:128], v[145:146], v[143:144]
	v_fma_f64 v[133:134], v[81:82], s[2:3], v[151:152]
	v_mul_f64 v[143:144], v[90:91], s[44:45]
	v_add_f64 v[129:130], v[131:132], v[129:130]
	v_fma_f64 v[131:132], v[94:95], s[28:29], -v[141:142]
	v_fma_f64 v[137:138], v[100:101], s[24:25], -v[137:138]
	v_add_f64 v[121:122], v[125:126], v[121:122]
	v_fma_f64 v[125:126], v[92:93], s[16:17], v[149:150]
	v_mul_f64 v[153:154], v[102:103], s[56:57]
	v_add_f64 v[115:116], v[135:136], v[115:116]
	v_add_f64 v[127:128], v[133:134], v[127:128]
	v_fma_f64 v[133:134], v[85:86], s[38:39], v[143:144]
	v_mul_f64 v[135:136], v[98:99], s[54:55]
	v_add_f64 v[129:130], v[131:132], v[129:130]
	v_fma_f64 v[131:132], v[73:74], s[28:29], -v[139:140]
	v_add_f64 v[141:142], v[68:69], v[4:5]
	v_add_f64 v[121:122], v[125:126], v[121:122]
	v_fma_f64 v[125:126], v[96:97], s[24:25], v[153:154]
	v_mul_f64 v[145:146], v[106:107], s[54:55]
	v_add_f64 v[123:124], v[137:138], v[123:124]
	v_fma_f64 v[137:138], v[92:93], s[16:17], -v[149:150]
	v_add_f64 v[127:128], v[133:134], v[127:128]
	v_mul_f64 v[133:134], v[75:76], s[34:35]
	v_fma_f64 v[139:140], v[94:95], s[22:23], v[135:136]
	v_mul_f64 v[149:150], v[104:105], s[20:21]
	v_fma_f64 v[147:148], v[77:78], s[24:25], -v[147:148]
	v_add_f64 v[131:132], v[4:5], v[131:132]
	v_add_f64 v[141:142], v[64:65], v[141:142]
	;; [unrolled: 1-line block ×3, first 2 shown]
	v_fma_f64 v[125:126], v[100:101], s[22:23], v[145:146]
	v_add_f64 v[129:130], v[137:138], v[129:130]
	v_fma_f64 v[137:138], v[96:97], s[24:25], -v[153:154]
	v_fma_f64 v[153:154], v[73:74], s[22:23], v[133:134]
	v_mul_f64 v[155:156], v[79:80], s[50:51]
	v_add_f64 v[127:128], v[139:140], v[127:128]
	v_fma_f64 v[139:140], v[92:93], s[4:5], v[149:150]
	v_add_f64 v[131:132], v[147:148], v[131:132]
	v_fma_f64 v[147:148], v[81:82], s[2:3], -v[151:152]
	v_add_f64 v[141:142], v[60:61], v[141:142]
	v_add_f64 v[121:122], v[125:126], v[121:122]
	v_add_f64 v[125:126], v[4:5], v[153:154]
	v_fma_f64 v[151:152], v[77:78], s[46:47], v[155:156]
	v_mul_f64 v[153:154], v[83:84], s[36:37]
	v_add_f64 v[129:130], v[137:138], v[129:130]
	v_add_f64 v[127:128], v[139:140], v[127:128]
	;; [unrolled: 1-line block ×3, first 2 shown]
	v_fma_f64 v[133:134], v[73:74], s[22:23], -v[133:134]
	v_fma_f64 v[137:138], v[85:86], s[38:39], -v[143:144]
	v_add_f64 v[139:140], v[56:57], v[141:142]
	v_add_f64 v[125:126], v[151:152], v[125:126]
	v_fma_f64 v[141:142], v[81:82], s[24:25], v[153:154]
	v_mul_f64 v[143:144], v[90:91], s[6:7]
	v_fma_f64 v[151:152], v[77:78], s[46:47], -v[155:156]
	v_fma_f64 v[135:136], v[94:95], s[22:23], -v[135:136]
	v_add_f64 v[133:134], v[4:5], v[133:134]
	v_add_f64 v[131:132], v[137:138], v[131:132]
	;; [unrolled: 1-line block ×3, first 2 shown]
	v_mul_f64 v[75:76], v[75:76], s[20:21]
	v_add_f64 v[125:126], v[141:142], v[125:126]
	v_fma_f64 v[139:140], v[85:86], s[2:3], v[143:144]
	v_mul_f64 v[141:142], v[98:99], s[30:31]
	v_fma_f64 v[143:144], v[85:86], s[2:3], -v[143:144]
	v_add_f64 v[133:134], v[151:152], v[133:134]
	v_fma_f64 v[151:152], v[81:82], s[24:25], -v[153:154]
	v_add_f64 v[131:132], v[135:136], v[131:132]
	v_add_f64 v[135:136], v[48:49], v[137:138]
	v_mul_f64 v[79:80], v[79:80], s[34:35]
	v_add_f64 v[125:126], v[139:140], v[125:126]
	v_fma_f64 v[139:140], v[94:95], s[16:17], v[141:142]
	v_mul_f64 v[83:84], v[83:84], s[40:41]
	v_mul_f64 v[90:91], v[90:91], s[50:51]
	v_add_f64 v[133:134], v[151:152], v[133:134]
	v_mul_f64 v[98:99], v[98:99], s[48:49]
	v_add_f64 v[135:136], v[44:45], v[135:136]
	v_mul_f64 v[147:148], v[102:103], s[50:51]
	v_fma_f64 v[137:138], v[92:93], s[4:5], -v[149:150]
	v_add_f64 v[125:126], v[139:140], v[125:126]
	v_fma_f64 v[139:140], v[73:74], s[4:5], -v[75:76]
	v_fma_f64 v[72:73], v[73:74], s[4:5], v[75:76]
	v_add_f64 v[74:75], v[143:144], v[133:134]
	v_fma_f64 v[143:144], v[77:78], s[22:23], -v[79:80]
	v_add_f64 v[133:134], v[40:41], v[135:136]
	v_fma_f64 v[135:136], v[94:95], s[16:17], -v[141:142]
	v_mul_f64 v[141:142], v[104:105], s[44:45]
	v_add_f64 v[131:132], v[137:138], v[131:132]
	v_add_f64 v[139:140], v[4:5], v[139:140]
	;; [unrolled: 1-line block ×3, first 2 shown]
	v_fma_f64 v[72:73], v[77:78], s[22:23], v[79:80]
	v_fma_f64 v[137:138], v[96:97], s[46:47], -v[147:148]
	v_add_f64 v[76:77], v[36:37], v[133:134]
	v_add_f64 v[74:75], v[135:136], v[74:75]
	v_fma_f64 v[133:134], v[81:82], s[28:29], -v[83:84]
	v_fma_f64 v[78:79], v[92:93], s[38:39], -v[141:142]
	v_add_f64 v[135:136], v[143:144], v[139:140]
	v_mul_f64 v[139:140], v[102:103], s[42:43]
	v_add_f64 v[4:5], v[72:73], v[4:5]
	v_fma_f64 v[155:156], v[96:97], s[46:47], v[147:148]
	v_add_f64 v[72:73], v[32:33], v[76:77]
	v_fma_f64 v[76:77], v[81:82], s[28:29], v[83:84]
	v_fma_f64 v[82:83], v[85:86], s[46:47], -v[90:91]
	v_fma_f64 v[80:81], v[92:93], s[38:39], v[141:142]
	v_add_f64 v[133:134], v[133:134], v[135:136]
	v_add_f64 v[74:75], v[78:79], v[74:75]
	v_fma_f64 v[78:79], v[96:97], s[28:29], -v[139:140]
	v_add_f64 v[127:128], v[155:156], v[127:128]
	v_add_f64 v[72:73], v[28:29], v[72:73]
	v_add_f64 v[4:5], v[76:77], v[4:5]
	v_fma_f64 v[76:77], v[85:86], s[46:47], v[90:91]
	v_fma_f64 v[86:87], v[94:95], s[38:39], -v[98:99]
	v_add_f64 v[82:83], v[82:83], v[133:134]
	v_mul_f64 v[90:91], v[104:105], s[36:37]
	v_add_f64 v[80:81], v[80:81], v[125:126]
	v_add_f64 v[84:85], v[137:138], v[131:132]
	;; [unrolled: 1-line block ×5, first 2 shown]
	v_fma_f64 v[76:77], v[94:95], s[38:39], v[98:99]
	v_add_f64 v[82:83], v[86:87], v[82:83]
	v_fma_f64 v[86:87], v[92:93], s[24:25], -v[90:91]
	v_mul_f64 v[94:95], v[102:103], s[18:19]
	v_fma_f64 v[90:91], v[92:93], s[24:25], v[90:91]
	v_add_f64 v[72:73], v[16:17], v[72:73]
	v_mul_f64 v[98:99], v[106:107], s[6:7]
	v_mul_f64 v[92:93], v[106:107], s[18:19]
	v_add_f64 v[4:5], v[76:77], v[4:5]
	v_mul_f64 v[76:77], v[106:107], s[10:11]
	v_add_f64 v[82:83], v[86:87], v[82:83]
	v_fma_f64 v[86:87], v[96:97], s[16:17], -v[94:95]
	v_fma_f64 v[102:103], v[96:97], s[28:29], v[139:140]
	v_add_f64 v[72:73], v[8:9], v[72:73]
	v_fma_f64 v[94:95], v[96:97], s[16:17], v[94:95]
	v_fma_f64 v[96:97], v[100:101], s[16:17], v[92:93]
	v_add_f64 v[4:5], v[90:91], v[4:5]
	v_fma_f64 v[90:91], v[100:101], s[2:3], -v[98:99]
	v_fma_f64 v[92:93], v[100:101], s[16:17], -v[92:93]
	v_add_f64 v[82:83], v[86:87], v[82:83]
	v_fma_f64 v[86:87], v[100:101], s[4:5], -v[76:77]
	v_add_f64 v[72:73], v[20:21], v[72:73]
	v_fma_f64 v[78:79], v[100:101], s[22:23], -v[145:146]
	v_fma_f64 v[76:77], v[100:101], s[4:5], v[76:77]
	v_add_f64 v[80:81], v[102:103], v[80:81]
	v_fma_f64 v[98:99], v[100:101], s[2:3], v[98:99]
	v_add_f64 v[4:5], v[94:95], v[4:5]
	v_add_f64 v[82:83], v[90:91], v[82:83]
	;; [unrolled: 1-line block ×7, first 2 shown]
	v_mul_u32_u24_e32 v80, 0x88, v111
	v_add_f64 v[86:87], v[96:97], v[127:128]
	v_add3_u32 v80, 0, v80, v112
	v_add_f64 v[4:5], v[98:99], v[4:5]
	ds_write2_b64 v80, v[72:73], v[82:83] offset1:1
	ds_write2_b64 v80, v[74:75], v[84:85] offset0:2 offset1:3
	ds_write2_b64 v80, v[78:79], v[123:124] offset0:4 offset1:5
	;; [unrolled: 1-line block ×7, first 2 shown]
	ds_write_b64 v80, v[4:5] offset:128
.LBB0_14:
	s_or_b64 exec, exec, s[26:27]
	v_lshlrev_b32_e32 v90, 3, v111
	v_add_u32_e32 v107, 0, v90
	v_add_u32_e32 v106, v107, v112
	s_waitcnt lgkmcnt(0)
	s_barrier
	v_add3_u32 v105, 0, v112, v90
	ds_read2_b64 v[76:79], v106 offset0:102 offset1:153
	ds_read2_b64 v[80:83], v106 offset0:34 offset1:68
	;; [unrolled: 1-line block ×3, first 2 shown]
	ds_read_b64 v[93:94], v105
	ds_read_b64 v[91:92], v106 offset:2040
	v_cmp_gt_u32_e64 s[2:3], 17, v111
	s_and_saveexec_b64 s[4:5], s[2:3]
	s_cbranch_execz .LBB0_16
; %bb.15:
	v_add_u32_e32 v0, 0x400, v106
	ds_read2_b64 v[0:3], v0 offset0:8 offset1:161
.LBB0_16:
	s_or_b64 exec, exec, s[4:5]
	v_add_f64 v[99:100], v[68:69], -v[12:13]
	s_mov_b32 s4, 0xacd6c6b4
	s_mov_b32 s5, 0xbfc7851a
	v_add_f64 v[95:96], v[14:15], v[70:71]
	v_add_f64 v[101:102], v[64:65], -v[20:21]
	s_mov_b32 s10, 0x7faef3
	s_mov_b32 s16, 0x5d8e7cdc
	;; [unrolled: 1-line block ×3, first 2 shown]
	v_mul_f64 v[4:5], v[99:100], s[4:5]
	s_mov_b32 s17, 0x3fd71e95
	v_add_f64 v[97:98], v[22:23], v[66:67]
	v_add_f64 v[103:104], v[60:61], -v[8:9]
	v_mul_f64 v[8:9], v[101:102], s[16:17]
	s_mov_b32 s18, 0x370991
	s_mov_b32 s22, 0x4363dd80
	;; [unrolled: 1-line block ×3, first 2 shown]
	v_fma_f64 v[12:13], v[95:96], s[10:11], v[4:5]
	v_fma_f64 v[4:5], v[95:96], s[10:11], -v[4:5]
	s_mov_b32 s23, 0xbfe0d888
	v_add_f64 v[68:69], v[10:11], v[62:63]
	v_mul_f64 v[20:21], v[103:104], s[22:23]
	v_fma_f64 v[84:85], v[97:98], s[18:19], v[8:9]
	v_fma_f64 v[8:9], v[97:98], s[18:19], -v[8:9]
	v_add_f64 v[64:65], v[56:57], -v[16:17]
	v_add_f64 v[12:13], v[6:7], v[12:13]
	v_add_f64 v[4:5], v[6:7], v[4:5]
	s_mov_b32 s20, 0x910ea3b9
	s_mov_b32 s24, 0x2a9d6da3
	;; [unrolled: 1-line block ×4, first 2 shown]
	v_add_f64 v[60:61], v[18:19], v[58:59]
	v_fma_f64 v[16:17], v[68:69], s[20:21], v[20:21]
	v_fma_f64 v[20:21], v[68:69], s[20:21], -v[20:21]
	v_add_f64 v[12:13], v[84:85], v[12:13]
	v_add_f64 v[4:5], v[8:9], v[4:5]
	v_mul_f64 v[8:9], v[64:65], s[24:25]
	v_add_f64 v[56:57], v[52:53], -v[24:25]
	s_mov_b32 s6, 0x75d4884
	s_mov_b32 s30, 0x6c9a05f6
	;; [unrolled: 1-line block ×4, first 2 shown]
	v_add_f64 v[12:13], v[16:17], v[12:13]
	v_add_f64 v[4:5], v[20:21], v[4:5]
	v_fma_f64 v[16:17], v[60:61], s[6:7], v[8:9]
	v_fma_f64 v[8:9], v[60:61], s[6:7], -v[8:9]
	v_add_f64 v[52:53], v[26:27], v[54:55]
	v_mul_f64 v[20:21], v[56:57], s[30:31]
	v_add_f64 v[24:25], v[48:49], -v[28:29]
	s_mov_b32 s26, 0x6ed5f1bb
	s_mov_b32 s34, 0x7c9e640b
	;; [unrolled: 1-line block ×4, first 2 shown]
	v_add_f64 v[12:13], v[16:17], v[12:13]
	v_add_f64 v[4:5], v[8:9], v[4:5]
	v_fma_f64 v[8:9], v[52:53], s[26:27], v[20:21]
	v_fma_f64 v[16:17], v[52:53], s[26:27], -v[20:21]
	v_add_f64 v[20:21], v[30:31], v[50:51]
	v_mul_f64 v[28:29], v[24:25], s[34:35]
	s_mov_b32 s36, 0x2b2883cd
	s_mov_b32 s37, 0x3fdc86fa
	;; [unrolled: 1-line block ×4, first 2 shown]
	v_add_f64 v[8:9], v[8:9], v[12:13]
	v_add_f64 v[4:5], v[16:17], v[4:5]
	v_add_f64 v[16:17], v[44:45], -v[32:33]
	v_fma_f64 v[32:33], v[20:21], s[36:37], v[28:29]
	v_fma_f64 v[28:29], v[20:21], s[36:37], -v[28:29]
	v_add_f64 v[12:13], v[34:35], v[46:47]
	s_mov_b32 s40, 0xc61f0d01
	s_mov_b32 s44, 0xeb564b22
	;; [unrolled: 1-line block ×4, first 2 shown]
	v_mul_f64 v[44:45], v[16:17], s[38:39]
	v_add_f64 v[32:33], v[32:33], v[8:9]
	v_add_f64 v[8:9], v[40:41], -v[36:37]
	v_add_f64 v[28:29], v[28:29], v[4:5]
	v_add_f64 v[4:5], v[38:39], v[42:43]
	s_mov_b32 s42, 0x3259b75e
	s_mov_b32 s43, 0x3fb79ee6
	s_waitcnt lgkmcnt(0)
	v_fma_f64 v[36:37], v[12:13], s[40:41], v[44:45]
	v_fma_f64 v[40:41], v[12:13], s[40:41], -v[44:45]
	v_mul_f64 v[44:45], v[8:9], s[44:45]
	s_barrier
	v_add_f64 v[32:33], v[36:37], v[32:33]
	v_add_f64 v[28:29], v[40:41], v[28:29]
	v_fma_f64 v[36:37], v[4:5], s[42:43], v[44:45]
	v_fma_f64 v[40:41], v[4:5], s[42:43], -v[44:45]
	v_add_f64 v[84:85], v[36:37], v[32:33]
	v_add_f64 v[86:87], v[40:41], v[28:29]
	s_and_saveexec_b64 s[28:29], s[0:1]
	s_cbranch_execz .LBB0_18
; %bb.17:
	v_add_f64 v[28:29], v[70:71], v[6:7]
	s_mov_b32 s1, 0xbfd71e95
	s_mov_b32 s0, s16
	;; [unrolled: 1-line block ×7, first 2 shown]
	v_add_f64 v[28:29], v[66:67], v[28:29]
	s_mov_b32 s46, s44
	v_mul_f64 v[32:33], v[99:100], s[38:39]
	v_mul_f64 v[36:37], v[99:100], s[30:31]
	;; [unrolled: 1-line block ×6, first 2 shown]
	v_add_f64 v[28:29], v[62:63], v[28:29]
	v_mul_f64 v[99:100], v[99:100], s[46:47]
	v_mul_f64 v[44:45], v[101:102], s[30:31]
	v_mul_f64 v[48:49], v[101:102], s[4:5]
	s_mov_b32 s55, 0x3fe0d888
	s_mov_b32 s54, s22
	;; [unrolled: 1-line block ×3, first 2 shown]
	v_fma_f64 v[141:142], v[95:96], s[36:37], v[113:114]
	v_add_f64 v[28:29], v[58:59], v[28:29]
	v_fma_f64 v[113:114], v[95:96], s[36:37], -v[113:114]
	s_mov_b32 s52, s38
	s_mov_b32 s57, 0x3fc7851a
	;; [unrolled: 1-line block ×3, first 2 shown]
	v_mul_f64 v[62:63], v[101:102], s[34:35]
	v_mul_f64 v[115:116], v[101:102], s[48:49]
	;; [unrolled: 1-line block ×3, first 2 shown]
	v_add_f64 v[28:29], v[54:55], v[28:29]
	v_mul_f64 v[54:55], v[101:102], s[54:55]
	v_mul_f64 v[101:102], v[101:102], s[52:53]
	;; [unrolled: 1-line block ×4, first 2 shown]
	v_fma_f64 v[127:128], v[95:96], s[26:27], v[36:37]
	v_fma_f64 v[129:130], v[95:96], s[20:21], v[40:41]
	v_fma_f64 v[40:41], v[95:96], s[20:21], -v[40:41]
	v_add_f64 v[28:29], v[50:51], v[28:29]
	v_fma_f64 v[50:51], v[95:96], s[40:41], v[32:33]
	v_fma_f64 v[32:33], v[95:96], s[40:41], -v[32:33]
	v_fma_f64 v[131:132], v[97:98], s[26:27], v[44:45]
	v_fma_f64 v[44:45], v[97:98], s[26:27], -v[44:45]
	;; [unrolled: 2-line block ×3, first 2 shown]
	v_fma_f64 v[139:140], v[95:96], s[6:7], v[108:109]
	v_add_f64 v[28:29], v[46:47], v[28:29]
	v_fma_f64 v[46:47], v[97:98], s[10:11], v[48:49]
	v_fma_f64 v[108:109], v[95:96], s[6:7], -v[108:109]
	v_add_f64 v[113:114], v[6:7], v[113:114]
	v_mul_f64 v[66:67], v[103:104], s[30:31]
	v_mul_f64 v[58:59], v[103:104], s[24:25]
	;; [unrolled: 1-line block ×4, first 2 shown]
	v_add_f64 v[28:29], v[42:43], v[28:29]
	v_fma_f64 v[36:37], v[95:96], s[26:27], -v[36:37]
	v_fma_f64 v[133:134], v[97:98], s[36:37], v[62:63]
	v_fma_f64 v[62:63], v[97:98], s[36:37], -v[62:63]
	v_fma_f64 v[143:144], v[97:98], s[42:43], v[117:118]
	;; [unrolled: 2-line block ×3, first 2 shown]
	v_fma_f64 v[147:148], v[68:69], s[10:11], v[121:122]
	v_add_f64 v[28:29], v[38:39], v[28:29]
	v_fma_f64 v[38:39], v[95:96], s[42:43], v[99:100]
	v_fma_f64 v[95:96], v[95:96], s[42:43], -v[99:100]
	v_fma_f64 v[99:100], v[97:98], s[6:7], v[115:116]
	v_fma_f64 v[115:116], v[97:98], s[6:7], -v[115:116]
	v_fma_f64 v[121:122], v[68:69], s[10:11], -v[121:122]
	v_add_f64 v[50:51], v[6:7], v[50:51]
	v_add_f64 v[32:33], v[6:7], v[32:33]
	;; [unrolled: 1-line block ×3, first 2 shown]
	v_fma_f64 v[34:35], v[97:98], s[20:21], -v[54:55]
	v_fma_f64 v[54:55], v[97:98], s[40:41], v[101:102]
	v_add_f64 v[127:128], v[6:7], v[127:128]
	v_add_f64 v[70:71], v[6:7], v[70:71]
	;; [unrolled: 1-line block ×4, first 2 shown]
	v_mul_f64 v[103:104], v[103:104], s[46:47]
	v_add_f64 v[28:29], v[30:31], v[28:29]
	v_fma_f64 v[30:31], v[68:69], s[40:41], v[123:124]
	v_fma_f64 v[48:49], v[97:98], s[10:11], -v[48:49]
	v_fma_f64 v[135:136], v[68:69], s[26:27], v[66:67]
	v_fma_f64 v[66:67], v[68:69], s[26:27], -v[66:67]
	v_fma_f64 v[42:43], v[68:69], s[6:7], v[58:59]
	v_fma_f64 v[97:98], v[97:98], s[40:41], -v[101:102]
	v_fma_f64 v[101:102], v[68:69], s[36:37], v[119:120]
	v_add_f64 v[26:27], v[26:27], v[28:29]
	v_add_f64 v[28:29], v[6:7], v[40:41]
	;; [unrolled: 1-line block ×4, first 2 shown]
	v_fma_f64 v[119:120], v[68:69], s[36:37], -v[119:120]
	v_add_f64 v[36:37], v[6:7], v[36:37]
	v_add_f64 v[129:130], v[6:7], v[129:130]
	;; [unrolled: 1-line block ×25, first 2 shown]
	v_fma_f64 v[42:43], v[68:69], s[18:19], -v[125:126]
	v_fma_f64 v[54:55], v[68:69], s[42:43], v[103:104]
	v_add_f64 v[10:11], v[14:15], v[10:11]
	v_add_f64 v[14:15], v[121:122], v[44:45]
	v_fma_f64 v[44:45], v[68:69], s[6:7], -v[58:59]
	v_add_f64 v[22:23], v[30:31], v[22:23]
	v_fma_f64 v[30:31], v[68:69], s[18:19], v[125:126]
	v_mul_f64 v[58:59], v[64:65], s[46:47]
	v_mul_f64 v[62:63], v[64:65], s[4:5]
	v_fma_f64 v[123:124], v[68:69], s[40:41], -v[123:124]
	v_add_f64 v[6:7], v[48:49], v[6:7]
	v_add_f64 v[48:49], v[147:148], v[70:71]
	;; [unrolled: 1-line block ×3, first 2 shown]
	v_fma_f64 v[44:45], v[68:69], s[42:43], -v[103:104]
	v_add_f64 v[30:31], v[30:31], v[34:35]
	v_mul_f64 v[34:35], v[64:65], s[52:53]
	v_add_f64 v[36:37], v[42:43], v[36:37]
	v_add_f64 v[42:43], v[54:55], v[50:51]
	v_fma_f64 v[50:51], v[60:61], s[42:43], v[58:59]
	v_fma_f64 v[54:55], v[60:61], s[42:43], -v[58:59]
	v_fma_f64 v[58:59], v[60:61], s[10:11], -v[62:63]
	v_add_f64 v[18:19], v[44:45], v[18:19]
	v_fma_f64 v[44:45], v[60:61], s[10:11], v[62:63]
	v_fma_f64 v[62:63], v[60:61], s[40:41], v[34:35]
	v_fma_f64 v[34:35], v[60:61], s[40:41], -v[34:35]
	v_mul_f64 v[66:67], v[64:65], s[16:17]
	v_add_f64 v[6:7], v[123:124], v[6:7]
	v_add_f64 v[26:27], v[50:51], v[26:27]
	;; [unrolled: 1-line block ×3, first 2 shown]
	v_mul_f64 v[50:51], v[64:65], s[50:51]
	v_add_f64 v[40:41], v[44:45], v[40:41]
	v_add_f64 v[44:45], v[58:59], v[46:47]
	;; [unrolled: 1-line block ×4, first 2 shown]
	v_fma_f64 v[34:35], v[60:61], s[18:19], v[66:67]
	v_fma_f64 v[48:49], v[60:61], s[18:19], -v[66:67]
	v_mul_f64 v[54:55], v[64:65], s[22:23]
	s_mov_b32 s57, 0x3fe9895b
	s_mov_b32 s56, s30
	v_fma_f64 v[58:59], v[60:61], s[36:37], v[50:51]
	v_fma_f64 v[50:51], v[60:61], s[36:37], -v[50:51]
	v_mul_f64 v[62:63], v[64:65], s[56:57]
	v_add_f64 v[22:23], v[34:35], v[22:23]
	v_add_f64 v[6:7], v[48:49], v[6:7]
	v_fma_f64 v[34:35], v[60:61], s[20:21], v[54:55]
	v_fma_f64 v[48:49], v[60:61], s[20:21], -v[54:55]
	v_mul_f64 v[54:55], v[56:57], s[38:39]
	v_add_f64 v[38:39], v[58:59], v[38:39]
	v_add_f64 v[32:33], v[50:51], v[32:33]
	v_fma_f64 v[50:51], v[60:61], s[26:27], v[62:63]
	v_fma_f64 v[58:59], v[60:61], s[26:27], -v[62:63]
	v_mul_f64 v[60:61], v[56:57], s[54:55]
	v_add_f64 v[30:31], v[34:35], v[30:31]
	v_add_f64 v[34:35], v[48:49], v[36:37]
	v_fma_f64 v[36:37], v[52:53], s[40:41], v[54:55]
	v_fma_f64 v[48:49], v[52:53], s[40:41], -v[54:55]
	v_mul_f64 v[54:55], v[56:57], s[24:25]
	v_add_f64 v[42:43], v[50:51], v[42:43]
	v_add_f64 v[18:19], v[58:59], v[18:19]
	v_fma_f64 v[50:51], v[52:53], s[20:21], v[60:61]
	v_fma_f64 v[58:59], v[52:53], s[20:21], -v[60:61]
	v_mul_f64 v[60:61], v[56:57], s[50:51]
	v_add_f64 v[26:27], v[36:37], v[26:27]
	v_add_f64 v[28:29], v[48:49], v[28:29]
	v_fma_f64 v[36:37], v[52:53], s[6:7], v[54:55]
	v_fma_f64 v[48:49], v[52:53], s[6:7], -v[54:55]
	v_mul_f64 v[54:55], v[56:57], s[4:5]
	v_add_f64 v[40:41], v[50:51], v[40:41]
	v_add_f64 v[44:45], v[58:59], v[44:45]
	v_fma_f64 v[50:51], v[52:53], s[36:37], v[60:61]
	v_fma_f64 v[58:59], v[52:53], s[36:37], -v[60:61]
	v_mul_f64 v[60:61], v[56:57], s[44:45]
	v_add_f64 v[36:37], v[36:37], v[46:47]
	v_add_f64 v[14:15], v[48:49], v[14:15]
	v_fma_f64 v[46:47], v[52:53], s[10:11], v[54:55]
	v_fma_f64 v[48:49], v[52:53], s[10:11], -v[54:55]
	v_mul_f64 v[54:55], v[56:57], s[0:1]
	v_add_f64 v[22:23], v[50:51], v[22:23]
	v_add_f64 v[6:7], v[58:59], v[6:7]
	v_fma_f64 v[50:51], v[52:53], s[42:43], v[60:61]
	v_fma_f64 v[56:57], v[52:53], s[42:43], -v[60:61]
	v_mul_f64 v[58:59], v[24:25], s[30:31]
	v_add_f64 v[38:39], v[46:47], v[38:39]
	v_add_f64 v[32:33], v[48:49], v[32:33]
	v_fma_f64 v[46:47], v[52:53], s[18:19], v[54:55]
	v_fma_f64 v[48:49], v[52:53], s[18:19], -v[54:55]
	v_mul_f64 v[52:53], v[24:25], s[52:53]
	v_add_f64 v[30:31], v[50:51], v[30:31]
	v_add_f64 v[34:35], v[56:57], v[34:35]
	v_fma_f64 v[50:51], v[20:21], s[26:27], v[58:59]
	v_fma_f64 v[54:55], v[20:21], s[26:27], -v[58:59]
	v_mul_f64 v[56:57], v[24:25], s[0:1]
	v_add_f64 v[42:43], v[46:47], v[42:43]
	v_add_f64 v[18:19], v[48:49], v[18:19]
	v_fma_f64 v[46:47], v[20:21], s[40:41], v[52:53]
	v_fma_f64 v[48:49], v[20:21], s[40:41], -v[52:53]
	v_mul_f64 v[52:53], v[24:25], s[22:23]
	v_add_f64 v[26:27], v[50:51], v[26:27]
	v_add_f64 v[28:29], v[54:55], v[28:29]
	v_fma_f64 v[50:51], v[20:21], s[18:19], v[56:57]
	v_fma_f64 v[54:55], v[20:21], s[18:19], -v[56:57]
	v_mul_f64 v[56:57], v[24:25], s[44:45]
	v_add_f64 v[40:41], v[46:47], v[40:41]
	v_add_f64 v[44:45], v[48:49], v[44:45]
	v_fma_f64 v[46:47], v[20:21], s[20:21], v[52:53]
	v_fma_f64 v[48:49], v[20:21], s[20:21], -v[52:53]
	v_mul_f64 v[52:53], v[24:25], s[48:49]
	v_add_f64 v[36:37], v[50:51], v[36:37]
	v_add_f64 v[14:15], v[54:55], v[14:15]
	v_fma_f64 v[50:51], v[20:21], s[42:43], v[56:57]
	v_fma_f64 v[54:55], v[20:21], s[42:43], -v[56:57]
	v_mul_f64 v[24:25], v[24:25], s[4:5]
	v_add_f64 v[22:23], v[46:47], v[22:23]
	v_add_f64 v[6:7], v[48:49], v[6:7]
	v_fma_f64 v[46:47], v[20:21], s[6:7], v[52:53]
	v_fma_f64 v[48:49], v[20:21], s[6:7], -v[52:53]
	v_mul_f64 v[52:53], v[16:17], s[22:23]
	v_add_f64 v[38:39], v[50:51], v[38:39]
	v_add_f64 v[32:33], v[54:55], v[32:33]
	v_fma_f64 v[50:51], v[20:21], s[10:11], v[24:25]
	v_mul_f64 v[54:55], v[16:17], s[34:35]
	v_fma_f64 v[20:21], v[20:21], s[10:11], -v[24:25]
	v_add_f64 v[24:25], v[46:47], v[30:31]
	v_add_f64 v[30:31], v[48:49], v[34:35]
	v_fma_f64 v[34:35], v[12:13], s[20:21], v[52:53]
	v_fma_f64 v[46:47], v[12:13], s[20:21], -v[52:53]
	v_mul_f64 v[48:49], v[16:17], s[46:47]
	v_add_f64 v[42:43], v[50:51], v[42:43]
	v_fma_f64 v[50:51], v[12:13], s[36:37], v[54:55]
	v_add_f64 v[18:19], v[20:21], v[18:19]
	v_fma_f64 v[20:21], v[12:13], s[36:37], -v[54:55]
	v_mul_f64 v[52:53], v[16:17], s[56:57]
	v_add_f64 v[26:27], v[34:35], v[26:27]
	v_add_f64 v[28:29], v[46:47], v[28:29]
	v_fma_f64 v[34:35], v[12:13], s[42:43], v[48:49]
	v_mul_f64 v[46:47], v[16:17], s[0:1]
	v_add_f64 v[40:41], v[50:51], v[40:41]
	v_fma_f64 v[48:49], v[12:13], s[42:43], -v[48:49]
	v_add_f64 v[20:21], v[20:21], v[44:45]
	v_fma_f64 v[44:45], v[12:13], s[26:27], v[52:53]
	v_fma_f64 v[50:51], v[12:13], s[26:27], -v[52:53]
	v_mul_f64 v[52:53], v[16:17], s[4:5]
	v_add_f64 v[34:35], v[34:35], v[36:37]
	v_fma_f64 v[36:37], v[12:13], s[18:19], v[46:47]
	v_fma_f64 v[46:47], v[12:13], s[18:19], -v[46:47]
	v_mul_f64 v[16:17], v[16:17], s[24:25]
	v_add_f64 v[14:15], v[48:49], v[14:15]
	v_add_f64 v[22:23], v[44:45], v[22:23]
	;; [unrolled: 1-line block ×3, first 2 shown]
	v_fma_f64 v[44:45], v[12:13], s[10:11], v[52:53]
	v_mul_f64 v[48:49], v[8:9], s[4:5]
	v_add_f64 v[36:37], v[36:37], v[38:39]
	v_add_f64 v[32:33], v[46:47], v[32:33]
	v_fma_f64 v[38:39], v[12:13], s[10:11], -v[52:53]
	v_fma_f64 v[46:47], v[12:13], s[6:7], v[16:17]
	v_mul_f64 v[50:51], v[8:9], s[16:17]
	v_fma_f64 v[12:13], v[12:13], s[6:7], -v[16:17]
	v_add_f64 v[16:17], v[44:45], v[24:25]
	v_fma_f64 v[24:25], v[4:5], s[10:11], v[48:49]
	v_fma_f64 v[44:45], v[4:5], s[10:11], -v[48:49]
	v_mul_f64 v[48:49], v[8:9], s[22:23]
	v_add_f64 v[30:31], v[38:39], v[30:31]
	v_add_f64 v[38:39], v[46:47], v[42:43]
	v_fma_f64 v[42:43], v[4:5], s[18:19], v[50:51]
	v_add_f64 v[12:13], v[12:13], v[18:19]
	v_fma_f64 v[18:19], v[4:5], s[18:19], -v[50:51]
	v_add_f64 v[24:25], v[24:25], v[26:27]
	v_add_f64 v[26:27], v[44:45], v[28:29]
	v_fma_f64 v[28:29], v[4:5], s[20:21], v[48:49]
	v_fma_f64 v[44:45], v[4:5], s[20:21], -v[48:49]
	v_mul_f64 v[46:47], v[8:9], s[24:25]
	v_add_f64 v[40:41], v[42:43], v[40:41]
	v_mul_f64 v[42:43], v[8:9], s[30:31]
	v_add_f64 v[18:19], v[18:19], v[20:21]
	v_mul_f64 v[20:21], v[8:9], s[34:35]
	v_mul_f64 v[8:9], v[8:9], s[38:39]
	v_add_f64 v[28:29], v[28:29], v[34:35]
	v_add_f64 v[14:15], v[44:45], v[14:15]
	v_fma_f64 v[34:35], v[4:5], s[6:7], v[46:47]
	v_fma_f64 v[44:45], v[4:5], s[6:7], -v[46:47]
	v_fma_f64 v[46:47], v[4:5], s[26:27], v[42:43]
	v_fma_f64 v[42:43], v[4:5], s[26:27], -v[42:43]
	v_fma_f64 v[48:49], v[4:5], s[36:37], v[20:21]
	v_fma_f64 v[50:51], v[4:5], s[40:41], v[8:9]
	v_fma_f64 v[20:21], v[4:5], s[36:37], -v[20:21]
	v_fma_f64 v[4:5], v[4:5], s[40:41], -v[8:9]
	v_add_f64 v[8:9], v[34:35], v[22:23]
	v_add_f64 v[6:7], v[44:45], v[6:7]
	;; [unrolled: 1-line block ×8, first 2 shown]
	v_lshlrev_b32_e32 v12, 7, v111
	v_add3_u32 v12, v107, v12, v112
	ds_write2_b64 v12, v[10:11], v[24:25] offset1:1
	ds_write2_b64 v12, v[40:41], v[28:29] offset0:2 offset1:3
	ds_write2_b64 v12, v[8:9], v[22:23] offset0:4 offset1:5
	;; [unrolled: 1-line block ×7, first 2 shown]
	ds_write_b64 v12, v[26:27] offset:128
.LBB0_18:
	s_or_b64 exec, exec, s[28:29]
	s_waitcnt lgkmcnt(0)
	s_barrier
	ds_read2_b64 v[16:19], v106 offset0:102 offset1:153
	ds_read2_b64 v[20:23], v106 offset0:34 offset1:68
	;; [unrolled: 1-line block ×3, first 2 shown]
	ds_read_b64 v[36:37], v105
	ds_read_b64 v[38:39], v106 offset:2040
	s_and_saveexec_b64 s[0:1], s[2:3]
	s_cbranch_execz .LBB0_20
; %bb.19:
	v_add_u32_e32 v8, 0x400, v106
	ds_read2_b64 v[84:87], v8 offset0:8 offset1:161
.LBB0_20:
	s_or_b64 exec, exec, s[0:1]
	v_subrev_u32_e32 v8, 17, v111
	v_cndmask_b32_e64 v41, v8, v111, s[2:3]
	v_mov_b32_e32 v42, 0
	v_lshlrev_b64 v[8:9], 4, v[41:42]
	v_mov_b32_e32 v10, s9
	v_add_co_u32_e64 v24, s[0:1], s8, v8
	v_addc_co_u32_e64 v25, s[0:1], v10, v9, s[0:1]
	v_add_u16_e32 v8, 34, v111
	s_movk_i32 s0, 0xf1
	v_mul_lo_u16_sdwa v9, v8, s0 dst_sel:DWORD dst_unused:UNUSED_PAD src0_sel:BYTE_0 src1_sel:DWORD
	v_lshrrev_b16_e32 v44, 12, v9
	v_mul_lo_u16_e32 v9, 17, v44
	v_sub_u16_e32 v52, v8, v9
	v_mov_b32_e32 v26, 4
	v_lshlrev_b32_sdwa v27, v26, v52 dst_sel:DWORD dst_unused:UNUSED_PAD src0_sel:DWORD src1_sel:BYTE_0
	global_load_dwordx4 v[8:11], v[24:25], off
	global_load_dwordx4 v[12:15], v27, s[8:9]
	v_add_u16_e32 v24, 0x44, v111
	v_mul_lo_u16_sdwa v25, v24, s0 dst_sel:DWORD dst_unused:UNUSED_PAD src0_sel:BYTE_0 src1_sel:DWORD
	v_lshrrev_b16_e32 v53, 12, v25
	v_mul_lo_u16_e32 v25, 17, v53
	v_sub_u16_e32 v54, v24, v25
	v_add_u16_e32 v25, 0x66, v111
	v_mul_lo_u16_sdwa v27, v25, s0 dst_sel:DWORD dst_unused:UNUSED_PAD src0_sel:BYTE_0 src1_sel:DWORD
	v_lshrrev_b16_e32 v55, 12, v27
	v_mul_lo_u16_e32 v27, 17, v55
	v_lshlrev_b32_sdwa v24, v26, v54 dst_sel:DWORD dst_unused:UNUSED_PAD src0_sel:DWORD src1_sel:BYTE_0
	v_sub_u16_e32 v56, v25, v27
	v_lshlrev_b32_sdwa v25, v26, v56 dst_sel:DWORD dst_unused:UNUSED_PAD src0_sel:DWORD src1_sel:BYTE_0
	global_load_dwordx4 v[28:31], v24, s[8:9]
	global_load_dwordx4 v[32:35], v25, s[8:9]
	v_add_u16_e32 v24, 0x88, v111
	v_mul_lo_u16_sdwa v25, v24, s0 dst_sel:DWORD dst_unused:UNUSED_PAD src0_sel:BYTE_0 src1_sel:DWORD
	v_lshrrev_b16_e32 v25, 12, v25
	v_mul_lo_u16_e32 v25, 17, v25
	v_sub_u16_e32 v40, v24, v25
	v_lshlrev_b32_sdwa v24, v26, v40 dst_sel:DWORD dst_unused:UNUSED_PAD src0_sel:DWORD src1_sel:BYTE_0
	global_load_dwordx4 v[24:27], v24, s[8:9]
	s_movk_i32 s4, 0x110
	v_mov_b32_e32 v45, 3
	v_mad_u32_u24 v62, v53, s4, 0
	v_lshlrev_b32_sdwa v64, v45, v52 dst_sel:DWORD dst_unused:UNUSED_PAD src0_sel:DWORD src1_sel:BYTE_0
	v_mov_b32_e32 v57, 0x110
	v_cmp_lt_u32_e64 s[0:1], 16, v111
	v_cndmask_b32_e64 v57, 0, v57, s[0:1]
	v_add_u32_e32 v57, 0, v57
	v_lshlrev_b32_e32 v41, 3, v41
	v_mad_u32_u24 v63, v55, s4, 0
	v_add3_u32 v41, v57, v41, v112
	v_lshlrev_b32_sdwa v65, v45, v56 dst_sel:DWORD dst_unused:UNUSED_PAD src0_sel:DWORD src1_sel:BYTE_0
	v_mad_u32_u24 v44, v44, s4, 0
	s_waitcnt vmcnt(0) lgkmcnt(0)
	s_barrier
	v_mul_f64 v[42:43], v[18:19], v[10:11]
	v_mul_f64 v[46:47], v[4:5], v[14:15]
	v_fma_f64 v[42:43], v[78:79], v[8:9], -v[42:43]
	v_fma_f64 v[46:47], v[72:73], v[12:13], -v[46:47]
	v_mul_f64 v[48:49], v[6:7], v[30:31]
	v_mul_f64 v[50:51], v[38:39], v[34:35]
	v_add_f64 v[52:53], v[93:94], -v[42:43]
	v_add_f64 v[46:47], v[80:81], -v[46:47]
	v_lshlrev_b32_sdwa v43, v45, v54 dst_sel:DWORD dst_unused:UNUSED_PAD src0_sel:DWORD src1_sel:BYTE_0
	v_add3_u32 v42, v44, v64, v112
	v_add3_u32 v43, v62, v43, v112
	v_fma_f64 v[48:49], v[74:75], v[28:29], -v[48:49]
	v_fma_f64 v[50:51], v[91:92], v[32:33], -v[50:51]
	v_add3_u32 v44, v63, v65, v112
	v_fma_f64 v[54:55], v[93:94], 2.0, -v[52:53]
	v_fma_f64 v[56:57], v[80:81], 2.0, -v[46:47]
	v_add_f64 v[48:49], v[82:83], -v[48:49]
	v_add_f64 v[50:51], v[76:77], -v[50:51]
	v_fma_f64 v[58:59], v[82:83], 2.0, -v[48:49]
	v_fma_f64 v[60:61], v[76:77], 2.0, -v[50:51]
	ds_write2_b64 v41, v[54:55], v[52:53] offset1:17
	ds_write2_b64 v42, v[56:57], v[46:47] offset1:17
	;; [unrolled: 1-line block ×4, first 2 shown]
	s_and_saveexec_b64 s[0:1], s[2:3]
	s_cbranch_execz .LBB0_22
; %bb.21:
	v_mul_f64 v[46:47], v[86:87], v[26:27]
	v_lshlrev_b32_sdwa v45, v45, v40 dst_sel:DWORD dst_unused:UNUSED_PAD src0_sel:DWORD src1_sel:BYTE_0
	v_add3_u32 v45, 0, v45, v112
	v_add_u32_e32 v45, 0x800, v45
	v_fma_f64 v[46:47], v[2:3], v[24:25], -v[46:47]
	v_add_f64 v[46:47], v[0:1], -v[46:47]
	v_fma_f64 v[0:1], v[0:1], 2.0, -v[46:47]
	ds_write2_b64 v45, v[0:1], v[46:47] offset0:16 offset1:33
.LBB0_22:
	s_or_b64 exec, exec, s[0:1]
	v_mul_f64 v[0:1], v[78:79], v[10:11]
	v_mul_f64 v[10:11], v[72:73], v[14:15]
	;; [unrolled: 1-line block ×4, first 2 shown]
	s_waitcnt lgkmcnt(0)
	s_barrier
	v_fma_f64 v[8:9], v[18:19], v[8:9], v[0:1]
	v_fma_f64 v[4:5], v[4:5], v[12:13], v[10:11]
	;; [unrolled: 1-line block ×4, first 2 shown]
	ds_read_b64 v[0:1], v105
	v_add_u32_e32 v18, 0x400, v106
	v_add_f64 v[28:29], v[36:37], -v[8:9]
	v_add_f64 v[30:31], v[20:21], -v[4:5]
	;; [unrolled: 1-line block ×4, first 2 shown]
	ds_read2_b64 v[4:7], v106 offset0:34 offset1:68
	ds_read2_b64 v[8:11], v106 offset0:102 offset1:136
	;; [unrolled: 1-line block ×3, first 2 shown]
	v_fma_f64 v[36:37], v[36:37], 2.0, -v[28:29]
	v_fma_f64 v[20:21], v[20:21], 2.0, -v[30:31]
	;; [unrolled: 1-line block ×4, first 2 shown]
	ds_read2_b64 v[16:19], v18 offset0:110 offset1:144
	s_waitcnt lgkmcnt(0)
	s_barrier
	ds_write2_b64 v41, v[36:37], v[28:29] offset1:17
	ds_write2_b64 v42, v[20:21], v[30:31] offset1:17
	;; [unrolled: 1-line block ×4, first 2 shown]
	s_and_saveexec_b64 s[0:1], s[2:3]
	s_cbranch_execz .LBB0_24
; %bb.23:
	v_mul_f64 v[2:3], v[2:3], v[26:27]
	v_mov_b32_e32 v22, 3
	v_lshlrev_b32_sdwa v22, v22, v40 dst_sel:DWORD dst_unused:UNUSED_PAD src0_sel:DWORD src1_sel:BYTE_0
	v_add3_u32 v22, 0, v22, v112
	v_add_u32_e32 v22, 0x800, v22
	v_fma_f64 v[2:3], v[86:87], v[24:25], v[2:3]
	v_add_f64 v[2:3], v[84:85], -v[2:3]
	v_fma_f64 v[20:21], v[84:85], 2.0, -v[2:3]
	ds_write2_b64 v22, v[20:21], v[2:3] offset0:16 offset1:33
.LBB0_24:
	s_or_b64 exec, exec, s[0:1]
	s_waitcnt lgkmcnt(0)
	s_barrier
	s_and_saveexec_b64 s[0:1], vcc
	s_cbranch_execz .LBB0_26
; %bb.25:
	v_mov_b32_e32 v91, 0
	v_lshlrev_b64 v[2:3], 4, v[90:91]
	v_mov_b32_e32 v20, s9
	v_add_co_u32_e32 v2, vcc, s8, v2
	v_addc_co_u32_e32 v3, vcc, v20, v3, vcc
	global_load_dwordx4 v[20:23], v[2:3], off offset:304
	global_load_dwordx4 v[24:27], v[2:3], off offset:352
	;; [unrolled: 1-line block ×8, first 2 shown]
	v_add_u32_e32 v2, 0x400, v106
	ds_read2_b64 v[52:55], v106 offset0:102 offset1:136
	ds_read2_b64 v[56:59], v106 offset0:170 offset1:204
	;; [unrolled: 1-line block ×4, first 2 shown]
	s_mov_b32 s2, 0x8c811c17
	s_mov_b32 s3, 0x3fef838b
	ds_read_b64 v[68:69], v105
	s_mov_b32 s16, 0xa2cf5039
	s_mov_b32 s7, 0xbfe491b7
	;; [unrolled: 1-line block ×14, first 2 shown]
	s_waitcnt vmcnt(7) lgkmcnt(4)
	v_mul_f64 v[2:3], v[52:53], v[22:23]
	s_waitcnt vmcnt(6) lgkmcnt(3)
	v_mul_f64 v[70:71], v[58:59], v[26:27]
	;; [unrolled: 2-line block ×4, first 2 shown]
	s_waitcnt vmcnt(3)
	v_mul_f64 v[76:77], v[54:55], v[38:39]
	s_waitcnt vmcnt(2)
	v_mul_f64 v[78:79], v[56:57], v[42:43]
	v_mul_f64 v[38:39], v[10:11], v[38:39]
	s_waitcnt vmcnt(0)
	v_mul_f64 v[82:83], v[66:67], v[50:51]
	v_mul_f64 v[42:43], v[12:13], v[42:43]
	;; [unrolled: 1-line block ×9, first 2 shown]
	v_fma_f64 v[2:3], v[8:9], v[20:21], -v[2:3]
	v_fma_f64 v[8:9], v[14:15], v[24:25], -v[70:71]
	;; [unrolled: 1-line block ×6, first 2 shown]
	v_fma_f64 v[18:19], v[36:37], v[54:55], v[38:39]
	v_fma_f64 v[36:37], v[40:41], v[56:57], v[42:43]
	;; [unrolled: 1-line block ×6, first 2 shown]
	v_fma_f64 v[4:5], v[4:5], v[44:45], -v[80:81]
	v_fma_f64 v[12:13], v[12:13], v[40:41], -v[78:79]
	v_fma_f64 v[24:25], v[44:45], v[60:61], v[46:47]
	v_fma_f64 v[26:27], v[48:49], v[66:67], v[50:51]
	v_add_f64 v[34:35], v[6:7], -v[14:15]
	v_add_f64 v[44:45], v[28:29], v[30:31]
	v_add_f64 v[6:7], v[6:7], v[14:15]
	;; [unrolled: 1-line block ×3, first 2 shown]
	v_add_f64 v[20:21], v[20:21], -v[22:23]
	v_add_f64 v[22:23], v[28:29], -v[30:31]
	;; [unrolled: 1-line block ×4, first 2 shown]
	v_add_f64 v[4:5], v[4:5], v[16:17]
	v_add_f64 v[38:39], v[10:11], -v[12:13]
	v_add_f64 v[48:49], v[24:25], v[26:27]
	v_add_f64 v[14:15], v[24:25], -v[26:27]
	;; [unrolled: 2-line block ×3, first 2 shown]
	v_mul_f64 v[16:17], v[28:29], s[2:3]
	v_add_f64 v[42:43], v[18:19], v[36:37]
	v_add_f64 v[52:53], v[6:7], v[4:5]
	v_mul_f64 v[2:3], v[38:39], s[2:3]
	v_add_f64 v[24:25], v[10:11], v[12:13]
	s_waitcnt lgkmcnt(0)
	v_fma_f64 v[8:9], v[44:45], s[16:17], v[68:69]
	v_fma_f64 v[30:31], v[6:7], s[16:17], v[0:1]
	v_add_f64 v[50:51], v[44:45], v[48:49]
	v_fma_f64 v[16:17], v[22:23], s[6:7], -v[16:17]
	v_mul_f64 v[64:65], v[38:39], s[6:7]
	v_add_f64 v[78:79], v[26:27], v[52:53]
	v_mul_f64 v[66:67], v[28:29], s[6:7]
	v_fma_f64 v[2:3], v[34:35], s[6:7], -v[2:3]
	s_mov_b32 s7, 0x3fe491b7
	v_add_f64 v[60:61], v[0:1], v[26:27]
	v_fma_f64 v[62:63], v[42:43], s[16:17], v[68:69]
	v_fma_f64 v[70:71], v[24:25], s[16:17], v[0:1]
	;; [unrolled: 1-line block ×5, first 2 shown]
	v_add_f64 v[76:77], v[46:47], v[50:51]
	v_add_f64 v[52:53], v[24:25], v[52:53]
	v_mul_f64 v[80:81], v[40:41], s[6:7]
	v_mul_f64 v[82:83], v[14:15], s[6:7]
	v_fma_f64 v[16:17], v[20:21], s[0:1], v[16:17]
	v_fma_f64 v[72:73], v[48:49], s[16:17], v[68:69]
	v_add_f64 v[10:11], v[10:11], v[78:79]
	v_add_f64 v[56:57], v[46:47], v[68:69]
	;; [unrolled: 1-line block ×4, first 2 shown]
	v_fma_f64 v[62:63], v[48:49], s[10:11], v[62:63]
	v_fma_f64 v[64:65], v[40:41], s[2:3], v[64:65]
	;; [unrolled: 1-line block ×6, first 2 shown]
	v_fma_f64 v[8:9], v[46:47], -0.5, v[8:9]
	v_fma_f64 v[30:31], v[26:27], -0.5, v[30:31]
	v_add_f64 v[18:19], v[18:19], v[76:77]
	v_fma_f64 v[52:53], v[52:53], -0.5, v[60:61]
	v_fma_f64 v[14:15], v[14:15], s[4:5], v[16:17]
	v_fma_f64 v[16:17], v[34:35], s[2:3], v[80:81]
	;; [unrolled: 1-line block ×4, first 2 shown]
	v_add_f64 v[10:11], v[12:13], v[10:11]
	v_add_f64 v[54:55], v[38:39], v[40:41]
	v_fma_f64 v[50:51], v[50:51], -0.5, v[56:57]
	v_fma_f64 v[40:41], v[40:41], s[4:5], v[2:3]
	v_fma_f64 v[2:3], v[48:49], s[8:9], v[8:9]
	;; [unrolled: 1-line block ×3, first 2 shown]
	v_fma_f64 v[30:31], v[46:47], -0.5, v[62:63]
	v_fma_f64 v[48:49], v[32:33], s[18:19], v[64:65]
	v_fma_f64 v[56:57], v[20:21], s[18:19], v[66:67]
	v_add_f64 v[18:19], v[36:37], v[18:19]
	v_fma_f64 v[36:37], v[26:27], -0.5, v[70:71]
	v_fma_f64 v[32:33], v[32:33], s[0:1], v[16:17]
	v_fma_f64 v[20:21], v[20:21], s[0:1], v[60:61]
	v_fma_f64 v[26:27], v[26:27], -0.5, v[74:75]
	v_add_f64 v[10:11], v[0:1], v[10:11]
	v_fma_f64 v[0:1], v[46:47], -0.5, v[72:73]
	v_add_f64 v[54:55], v[54:55], -v[34:35]
	v_add_f64 v[58:59], v[58:59], -v[22:23]
	v_add_f64 v[12:13], v[68:69], v[18:19]
	v_fma_f64 v[18:19], v[44:45], s[8:9], v[30:31]
	v_fma_f64 v[30:31], v[34:35], s[4:5], v[48:49]
	;; [unrolled: 1-line block ×8, first 2 shown]
	v_add_f64 v[4:5], v[2:3], -v[40:41]
	v_add_f64 v[2:3], v[14:15], v[8:9]
	v_mul_f64 v[32:33], v[58:59], s[0:1]
	v_fma_f64 v[6:7], v[58:59], s[0:1], v[52:53]
	v_add_f64 v[20:21], v[18:19], -v[30:31]
	v_add_f64 v[18:19], v[34:35], v[22:23]
	v_add_f64 v[26:27], v[38:39], v[26:27]
	v_mul_f64 v[76:77], v[54:55], s[0:1]
	v_add_f64 v[28:29], v[0:1], -v[36:37]
	v_mad_u64_u32 v[0:1], s[0:1], s12, v110, 0
	v_fma_f64 v[16:17], v[40:41], 2.0, v[4:5]
	v_fma_f64 v[22:23], v[32:33], -2.0, v[6:7]
	v_mad_u64_u32 v[40:41], s[0:1], s13, v110, v[1:2]
	v_fma_f64 v[32:33], v[30:31], 2.0, v[20:21]
	v_fma_f64 v[30:31], v[34:35], -2.0, v[18:19]
	v_fma_f64 v[34:35], v[38:39], -2.0, v[26:27]
	v_lshlrev_b64 v[38:39], 4, v[88:89]
	v_mov_b32_e32 v1, v40
	v_mov_b32_e32 v40, s15
	v_add_co_u32_e32 v42, vcc, s14, v38
	v_addc_co_u32_e32 v43, vcc, v40, v39, vcc
	v_add_u32_e32 v40, 34, v110
	v_mad_u64_u32 v[38:39], s[0:1], s12, v40, 0
	v_add_u32_e32 v44, 0x44, v110
	v_lshlrev_b64 v[0:1], 4, v[0:1]
	v_mad_u64_u32 v[39:40], s[0:1], s13, v40, v[39:40]
	v_mad_u64_u32 v[40:41], s[0:1], s12, v44, 0
	v_add_co_u32_e32 v0, vcc, v42, v0
	v_addc_co_u32_e32 v1, vcc, v43, v1, vcc
	global_store_dwordx4 v[0:1], v[10:13], off
	v_lshlrev_b64 v[0:1], 4, v[38:39]
	v_mov_b32_e32 v10, v41
	v_mad_u64_u32 v[10:11], s[0:1], s13, v44, v[10:11]
	v_add_u32_e32 v12, 0x66, v110
	v_add_co_u32_e32 v0, vcc, v42, v0
	v_mov_b32_e32 v41, v10
	v_mad_u64_u32 v[10:11], s[0:1], s12, v12, 0
	v_addc_co_u32_e32 v1, vcc, v43, v1, vcc
	v_fma_f64 v[8:9], v[54:55], s[18:19], v[50:51]
	global_store_dwordx4 v[0:1], v[26:29], off
	v_lshlrev_b64 v[0:1], 4, v[40:41]
	v_mad_u64_u32 v[11:12], s[0:1], s13, v12, v[11:12]
	v_add_co_u32_e32 v0, vcc, v42, v0
	v_addc_co_u32_e32 v1, vcc, v43, v1, vcc
	v_add_u32_e32 v26, 0x88, v110
	v_mad_u64_u32 v[12:13], s[0:1], s12, v26, 0
	global_store_dwordx4 v[0:1], v[18:21], off
	v_lshlrev_b64 v[0:1], 4, v[10:11]
	v_fma_f64 v[24:25], v[76:77], 2.0, v[8:9]
	v_add_co_u32_e32 v0, vcc, v42, v0
	v_addc_co_u32_e32 v1, vcc, v43, v1, vcc
	v_mov_b32_e32 v10, v13
	global_store_dwordx4 v[0:1], v[6:9], off
	v_mad_u64_u32 v[10:11], s[0:1], s13, v26, v[10:11]
	v_add_u32_e32 v8, 0xaa, v110
	v_mad_u64_u32 v[6:7], s[0:1], s12, v8, 0
	v_mov_b32_e32 v13, v10
	v_add_u32_e32 v10, 0xcc, v110
	v_mad_u64_u32 v[7:8], s[0:1], s13, v8, v[7:8]
	v_lshlrev_b64 v[0:1], 4, v[12:13]
	v_mad_u64_u32 v[8:9], s[0:1], s12, v10, 0
	v_add_co_u32_e32 v0, vcc, v42, v0
	v_addc_co_u32_e32 v1, vcc, v43, v1, vcc
	v_fma_f64 v[14:15], v[14:15], -2.0, v[2:3]
	global_store_dwordx4 v[0:1], v[2:5], off
	v_lshlrev_b64 v[0:1], 4, v[6:7]
	v_mov_b32_e32 v2, v9
	v_mad_u64_u32 v[2:3], s[0:1], s13, v10, v[2:3]
	v_add_u32_e32 v4, 0xee, v110
	v_add_co_u32_e32 v0, vcc, v42, v0
	v_mov_b32_e32 v9, v2
	v_mad_u64_u32 v[2:3], s[0:1], s12, v4, 0
	v_addc_co_u32_e32 v1, vcc, v43, v1, vcc
	v_mad_u64_u32 v[3:4], s[0:1], s13, v4, v[3:4]
	v_add_u32_e32 v6, 0x110, v110
	global_store_dwordx4 v[0:1], v[14:17], off
	v_lshlrev_b64 v[0:1], 4, v[8:9]
	v_mad_u64_u32 v[4:5], s[0:1], s12, v6, 0
	v_add_co_u32_e32 v0, vcc, v42, v0
	v_addc_co_u32_e32 v1, vcc, v43, v1, vcc
	global_store_dwordx4 v[0:1], v[22:25], off
	v_lshlrev_b64 v[0:1], 4, v[2:3]
	v_mov_b32_e32 v2, v5
	v_mad_u64_u32 v[2:3], s[0:1], s13, v6, v[2:3]
	v_fma_f64 v[36:37], v[36:37], 2.0, v[28:29]
	v_add_co_u32_e32 v0, vcc, v42, v0
	v_addc_co_u32_e32 v1, vcc, v43, v1, vcc
	v_mov_b32_e32 v5, v2
	global_store_dwordx4 v[0:1], v[30:33], off
	v_lshlrev_b64 v[0:1], 4, v[4:5]
	v_add_co_u32_e32 v0, vcc, v42, v0
	v_addc_co_u32_e32 v1, vcc, v43, v1, vcc
	global_store_dwordx4 v[0:1], v[34:37], off
.LBB0_26:
	s_endpgm
	.section	.rodata,"a",@progbits
	.p2align	6, 0x0
	.amdhsa_kernel fft_rtc_fwd_len306_factors_17_2_9_wgs_238_tpt_34_halfLds_dp_ip_CI_sbrr_dirReg
		.amdhsa_group_segment_fixed_size 0
		.amdhsa_private_segment_fixed_size 0
		.amdhsa_kernarg_size 88
		.amdhsa_user_sgpr_count 6
		.amdhsa_user_sgpr_private_segment_buffer 1
		.amdhsa_user_sgpr_dispatch_ptr 0
		.amdhsa_user_sgpr_queue_ptr 0
		.amdhsa_user_sgpr_kernarg_segment_ptr 1
		.amdhsa_user_sgpr_dispatch_id 0
		.amdhsa_user_sgpr_flat_scratch_init 0
		.amdhsa_user_sgpr_private_segment_size 0
		.amdhsa_uses_dynamic_stack 0
		.amdhsa_system_sgpr_private_segment_wavefront_offset 0
		.amdhsa_system_sgpr_workgroup_id_x 1
		.amdhsa_system_sgpr_workgroup_id_y 0
		.amdhsa_system_sgpr_workgroup_id_z 0
		.amdhsa_system_sgpr_workgroup_info 0
		.amdhsa_system_vgpr_workitem_id 0
		.amdhsa_next_free_vgpr 157
		.amdhsa_next_free_sgpr 60
		.amdhsa_reserve_vcc 1
		.amdhsa_reserve_flat_scratch 0
		.amdhsa_float_round_mode_32 0
		.amdhsa_float_round_mode_16_64 0
		.amdhsa_float_denorm_mode_32 3
		.amdhsa_float_denorm_mode_16_64 3
		.amdhsa_dx10_clamp 1
		.amdhsa_ieee_mode 1
		.amdhsa_fp16_overflow 0
		.amdhsa_exception_fp_ieee_invalid_op 0
		.amdhsa_exception_fp_denorm_src 0
		.amdhsa_exception_fp_ieee_div_zero 0
		.amdhsa_exception_fp_ieee_overflow 0
		.amdhsa_exception_fp_ieee_underflow 0
		.amdhsa_exception_fp_ieee_inexact 0
		.amdhsa_exception_int_div_zero 0
	.end_amdhsa_kernel
	.text
.Lfunc_end0:
	.size	fft_rtc_fwd_len306_factors_17_2_9_wgs_238_tpt_34_halfLds_dp_ip_CI_sbrr_dirReg, .Lfunc_end0-fft_rtc_fwd_len306_factors_17_2_9_wgs_238_tpt_34_halfLds_dp_ip_CI_sbrr_dirReg
                                        ; -- End function
	.section	.AMDGPU.csdata,"",@progbits
; Kernel info:
; codeLenInByte = 11784
; NumSgprs: 64
; NumVgprs: 157
; ScratchSize: 0
; MemoryBound: 1
; FloatMode: 240
; IeeeMode: 1
; LDSByteSize: 0 bytes/workgroup (compile time only)
; SGPRBlocks: 7
; VGPRBlocks: 39
; NumSGPRsForWavesPerEU: 64
; NumVGPRsForWavesPerEU: 157
; Occupancy: 1
; WaveLimiterHint : 1
; COMPUTE_PGM_RSRC2:SCRATCH_EN: 0
; COMPUTE_PGM_RSRC2:USER_SGPR: 6
; COMPUTE_PGM_RSRC2:TRAP_HANDLER: 0
; COMPUTE_PGM_RSRC2:TGID_X_EN: 1
; COMPUTE_PGM_RSRC2:TGID_Y_EN: 0
; COMPUTE_PGM_RSRC2:TGID_Z_EN: 0
; COMPUTE_PGM_RSRC2:TIDIG_COMP_CNT: 0
	.type	__hip_cuid_a70bef5c8a749004,@object ; @__hip_cuid_a70bef5c8a749004
	.section	.bss,"aw",@nobits
	.globl	__hip_cuid_a70bef5c8a749004
__hip_cuid_a70bef5c8a749004:
	.byte	0                               ; 0x0
	.size	__hip_cuid_a70bef5c8a749004, 1

	.ident	"AMD clang version 19.0.0git (https://github.com/RadeonOpenCompute/llvm-project roc-6.4.0 25133 c7fe45cf4b819c5991fe208aaa96edf142730f1d)"
	.section	".note.GNU-stack","",@progbits
	.addrsig
	.addrsig_sym __hip_cuid_a70bef5c8a749004
	.amdgpu_metadata
---
amdhsa.kernels:
  - .args:
      - .actual_access:  read_only
        .address_space:  global
        .offset:         0
        .size:           8
        .value_kind:     global_buffer
      - .offset:         8
        .size:           8
        .value_kind:     by_value
      - .actual_access:  read_only
        .address_space:  global
        .offset:         16
        .size:           8
        .value_kind:     global_buffer
      - .actual_access:  read_only
        .address_space:  global
        .offset:         24
        .size:           8
        .value_kind:     global_buffer
      - .offset:         32
        .size:           8
        .value_kind:     by_value
      - .actual_access:  read_only
        .address_space:  global
        .offset:         40
        .size:           8
        .value_kind:     global_buffer
      - .actual_access:  read_only
        .address_space:  global
        .offset:         48
        .size:           8
        .value_kind:     global_buffer
      - .offset:         56
        .size:           4
        .value_kind:     by_value
      - .actual_access:  read_only
        .address_space:  global
        .offset:         64
        .size:           8
        .value_kind:     global_buffer
      - .actual_access:  read_only
        .address_space:  global
        .offset:         72
        .size:           8
        .value_kind:     global_buffer
      - .address_space:  global
        .offset:         80
        .size:           8
        .value_kind:     global_buffer
    .group_segment_fixed_size: 0
    .kernarg_segment_align: 8
    .kernarg_segment_size: 88
    .language:       OpenCL C
    .language_version:
      - 2
      - 0
    .max_flat_workgroup_size: 238
    .name:           fft_rtc_fwd_len306_factors_17_2_9_wgs_238_tpt_34_halfLds_dp_ip_CI_sbrr_dirReg
    .private_segment_fixed_size: 0
    .sgpr_count:     64
    .sgpr_spill_count: 0
    .symbol:         fft_rtc_fwd_len306_factors_17_2_9_wgs_238_tpt_34_halfLds_dp_ip_CI_sbrr_dirReg.kd
    .uniform_work_group_size: 1
    .uses_dynamic_stack: false
    .vgpr_count:     157
    .vgpr_spill_count: 0
    .wavefront_size: 64
amdhsa.target:   amdgcn-amd-amdhsa--gfx906
amdhsa.version:
  - 1
  - 2
...

	.end_amdgpu_metadata
